;; amdgpu-corpus repo=ROCm/rocFFT kind=compiled arch=gfx950 opt=O3
	.text
	.amdgcn_target "amdgcn-amd-amdhsa--gfx950"
	.amdhsa_code_object_version 6
	.protected	bluestein_single_back_len1859_dim1_sp_op_CI_CI ; -- Begin function bluestein_single_back_len1859_dim1_sp_op_CI_CI
	.globl	bluestein_single_back_len1859_dim1_sp_op_CI_CI
	.p2align	8
	.type	bluestein_single_back_len1859_dim1_sp_op_CI_CI,@function
bluestein_single_back_len1859_dim1_sp_op_CI_CI: ; @bluestein_single_back_len1859_dim1_sp_op_CI_CI
; %bb.0:
	s_load_dwordx4 s[8:11], s[0:1], 0x28
	v_mul_u32_u24_e32 v1, 0x184, v0
	v_add_u32_sdwa v72, s2, v1 dst_sel:DWORD dst_unused:UNUSED_PAD src0_sel:DWORD src1_sel:WORD_1
	v_mov_b32_e32 v73, 0
	s_waitcnt lgkmcnt(0)
	v_cmp_gt_u64_e32 vcc, s[8:9], v[72:73]
	s_and_saveexec_b64 s[2:3], vcc
	s_cbranch_execz .LBB0_23
; %bb.1:
	s_load_dwordx2 s[8:9], s[0:1], 0x0
	s_load_dwordx2 s[12:13], s[0:1], 0x38
	s_movk_i32 s2, 0xa9
	v_mul_lo_u16_sdwa v1, v1, s2 dst_sel:DWORD dst_unused:UNUSED_PAD src0_sel:WORD_1 src1_sel:DWORD
	v_sub_u16_e32 v73, v0, v1
	s_movk_i32 s2, 0x8f
	v_cmp_gt_u16_e64 s[2:3], s2, v73
	v_lshlrev_b32_e32 v70, 3, v73
	s_and_saveexec_b64 s[14:15], s[2:3]
	s_cbranch_execz .LBB0_3
; %bb.2:
	s_load_dwordx2 s[4:5], s[0:1], 0x18
	v_mov_b32_e32 v0, s10
	v_mov_b32_e32 v1, s11
	;; [unrolled: 1-line block ×4, first 2 shown]
	s_waitcnt lgkmcnt(0)
	s_load_dwordx4 s[4:7], s[4:5], 0x0
	s_waitcnt lgkmcnt(0)
	v_mad_u64_u32 v[2:3], s[10:11], s6, v72, 0
	v_mad_u64_u32 v[4:5], s[10:11], s4, v73, 0
	v_mov_b32_e32 v6, v3
	v_mov_b32_e32 v8, v5
	v_mad_u64_u32 v[6:7], s[6:7], s7, v72, v[6:7]
	v_mov_b32_e32 v3, v6
	v_mad_u64_u32 v[6:7], s[6:7], s5, v73, v[8:9]
	v_mov_b32_e32 v5, v6
	v_lshl_add_u64 v[0:1], v[2:3], 3, v[0:1]
	v_lshl_add_u64 v[0:1], v[4:5], 3, v[0:1]
	global_load_dwordx2 v[2:3], v[0:1], off
	v_mad_u64_u32 v[0:1], s[6:7], s4, v52, v[0:1]
	s_mul_i32 s10, s5, 0x478
	v_add_u32_e32 v1, s10, v1
	v_mad_u64_u32 v[6:7], s[6:7], s4, v52, v[0:1]
	v_add_u32_e32 v7, s10, v7
	v_mad_u64_u32 v[14:15], s[6:7], s4, v52, v[6:7]
	v_add_u32_e32 v15, s10, v15
	v_mad_u64_u32 v[18:19], s[6:7], s4, v52, v[14:15]
	v_add_u32_e32 v19, s10, v19
	global_load_dwordx2 v[8:9], v70, s[8:9]
	global_load_dwordx2 v[10:11], v70, s[8:9] offset:1144
	global_load_dwordx2 v[12:13], v70, s[8:9] offset:2288
	;; [unrolled: 1-line block ×3, first 2 shown]
	global_load_dwordx2 v[20:21], v[0:1], off
	global_load_dwordx2 v[22:23], v[6:7], off
	;; [unrolled: 1-line block ×4, first 2 shown]
	v_mad_u64_u32 v[6:7], s[6:7], s4, v52, v[18:19]
	v_add_u32_e32 v7, s10, v7
	global_load_dwordx2 v[14:15], v[6:7], off
	v_mad_u64_u32 v[6:7], s[6:7], s4, v52, v[6:7]
	v_lshl_add_u64 v[4:5], s[8:9], 0, v[70:71]
	s_movk_i32 s5, 0x1000
	v_add_u32_e32 v7, s10, v7
	v_add_co_u32_e32 v0, vcc, s5, v4
	global_load_dwordx2 v[18:19], v[6:7], off
	v_mad_u64_u32 v[6:7], s[6:7], s4, v52, v[6:7]
	v_addc_co_u32_e32 v1, vcc, 0, v5, vcc
	v_add_u32_e32 v7, s10, v7
	global_load_dwordx2 v[28:29], v[0:1], off offset:480
	global_load_dwordx2 v[30:31], v[6:7], off
	global_load_dwordx2 v[32:33], v[0:1], off offset:1624
	global_load_dwordx2 v[34:35], v[0:1], off offset:2768
	;; [unrolled: 1-line block ×3, first 2 shown]
	v_mad_u64_u32 v[0:1], s[6:7], s4, v52, v[6:7]
	v_add_u32_e32 v1, s10, v1
	global_load_dwordx2 v[6:7], v[0:1], off
	v_mad_u64_u32 v[0:1], s[6:7], s4, v52, v[0:1]
	s_movk_i32 s5, 0x2000
	v_add_u32_e32 v1, s10, v1
	v_add_co_u32_e32 v38, vcc, s5, v4
	global_load_dwordx2 v[40:41], v[0:1], off
	v_mad_u64_u32 v[0:1], s[6:7], s4, v52, v[0:1]
	v_addc_co_u32_e32 v39, vcc, 0, v5, vcc
	v_add_u32_e32 v1, s10, v1
	s_movk_i32 s5, 0x3000
	global_load_dwordx2 v[42:43], v[38:39], off offset:960
	global_load_dwordx2 v[44:45], v[0:1], off
	global_load_dwordx2 v[46:47], v[38:39], off offset:2104
	global_load_dwordx2 v[48:49], v[38:39], off offset:3248
	v_mad_u64_u32 v[0:1], s[6:7], s4, v52, v[0:1]
	v_add_co_u32_e32 v4, vcc, s5, v4
	v_add_u32_e32 v1, s10, v1
	s_nop 0
	v_addc_co_u32_e32 v5, vcc, 0, v5, vcc
	global_load_dwordx2 v[38:39], v[0:1], off
	global_load_dwordx2 v[50:51], v[4:5], off offset:296
	v_mad_u64_u32 v[0:1], s[4:5], s4, v52, v[0:1]
	v_add_u32_e32 v1, s10, v1
	global_load_dwordx2 v[52:53], v[0:1], off
	global_load_dwordx2 v[54:55], v[4:5], off offset:1440
	v_add_u32_e32 v4, 0x800, v70
	s_waitcnt vmcnt(24)
	v_mul_f32_e32 v0, v3, v9
	v_mul_f32_e32 v1, v2, v9
	v_fmac_f32_e32 v0, v2, v8
	v_fma_f32 v1, v3, v8, -v1
	s_waitcnt vmcnt(20)
	v_mul_f32_e32 v2, v21, v11
	v_mul_f32_e32 v3, v20, v11
	v_fmac_f32_e32 v2, v20, v10
	v_fma_f32 v3, v21, v10, -v3
	ds_write2_b64 v70, v[0:1], v[2:3] offset1:143
	s_waitcnt vmcnt(19)
	v_mul_f32_e32 v0, v23, v13
	v_mul_f32_e32 v1, v22, v13
	s_waitcnt vmcnt(18)
	v_mul_f32_e32 v2, v25, v17
	v_mul_f32_e32 v3, v24, v17
	v_fmac_f32_e32 v0, v22, v12
	v_fma_f32 v1, v23, v12, -v1
	v_fmac_f32_e32 v2, v24, v16
	v_fma_f32 v3, v25, v16, -v3
	ds_write2_b64 v4, v[0:1], v[2:3] offset0:30 offset1:173
	s_waitcnt vmcnt(14)
	v_mul_f32_e32 v0, v27, v29
	v_mul_f32_e32 v1, v26, v29
	s_waitcnt vmcnt(12)
	v_mul_f32_e32 v2, v15, v33
	v_mul_f32_e32 v3, v14, v33
	v_fmac_f32_e32 v0, v26, v28
	v_fma_f32 v1, v27, v28, -v1
	v_fmac_f32_e32 v2, v14, v32
	v_fma_f32 v3, v15, v32, -v3
	v_add_u32_e32 v4, 0x1000, v70
	ds_write2_b64 v4, v[0:1], v[2:3] offset0:60 offset1:203
	s_waitcnt vmcnt(11)
	v_mul_f32_e32 v0, v19, v35
	v_mul_f32_e32 v1, v18, v35
	s_waitcnt vmcnt(10)
	v_mul_f32_e32 v2, v31, v37
	v_mul_f32_e32 v3, v30, v37
	v_fmac_f32_e32 v0, v18, v34
	v_fma_f32 v1, v19, v34, -v1
	v_fmac_f32_e32 v2, v30, v36
	v_fma_f32 v3, v31, v36, -v3
	v_add_u32_e32 v4, 0x1800, v70
	ds_write2_b64 v4, v[0:1], v[2:3] offset0:90 offset1:233
	v_add_u32_e32 v4, 0x2200, v70
	s_waitcnt vmcnt(7)
	v_mul_f32_e32 v0, v7, v43
	v_mul_f32_e32 v1, v6, v43
	s_waitcnt vmcnt(5)
	v_mul_f32_e32 v2, v41, v47
	v_mul_f32_e32 v3, v40, v47
	v_fmac_f32_e32 v0, v6, v42
	v_fma_f32 v1, v7, v42, -v1
	v_fmac_f32_e32 v2, v40, v46
	v_fma_f32 v3, v41, v46, -v3
	ds_write2_b64 v4, v[0:1], v[2:3] offset0:56 offset1:199
	s_waitcnt vmcnt(4)
	v_mul_f32_e32 v0, v45, v49
	v_mul_f32_e32 v1, v44, v49
	s_waitcnt vmcnt(2)
	v_mul_f32_e32 v2, v39, v51
	v_mul_f32_e32 v3, v38, v51
	v_fmac_f32_e32 v0, v44, v48
	v_fma_f32 v1, v45, v48, -v1
	v_fmac_f32_e32 v2, v38, v50
	v_fma_f32 v3, v39, v50, -v3
	v_add_u32_e32 v4, 0x2c00, v70
	ds_write2_b64 v4, v[0:1], v[2:3] offset0:22 offset1:165
	s_waitcnt vmcnt(0)
	v_mul_f32_e32 v0, v53, v55
	v_mul_f32_e32 v1, v52, v55
	v_fmac_f32_e32 v0, v52, v54
	v_fma_f32 v1, v53, v54, -v1
	ds_write_b64 v70, v[0:1] offset:13728
.LBB0_3:
	s_or_b64 exec, exec, s[14:15]
	s_load_dwordx2 s[4:5], s[0:1], 0x20
	s_load_dwordx2 s[10:11], s[0:1], 0x8
	v_mov_b64_e32 v[0:1], 0
	s_waitcnt lgkmcnt(0)
	s_barrier
	s_waitcnt lgkmcnt(0)
                                        ; implicit-def: $vgpr6
                                        ; implicit-def: $vgpr12
                                        ; implicit-def: $vgpr10
                                        ; implicit-def: $vgpr20
                                        ; implicit-def: $vgpr18
                                        ; implicit-def: $vgpr42
	s_and_saveexec_b64 s[0:1], s[2:3]
	s_cbranch_execz .LBB0_5
; %bb.4:
	v_add_u32_e32 v4, 0x800, v70
	ds_read2_b64 v[16:19], v4 offset0:30 offset1:173
	v_add_u32_e32 v4, 0x1000, v70
	ds_read2_b64 v[8:11], v4 offset0:60 offset1:203
	v_add_u32_e32 v4, 0x1800, v70
	v_add_u32_e32 v12, 0x2200, v70
	;; [unrolled: 1-line block ×3, first 2 shown]
	ds_read2_b64 v[0:3], v70 offset1:143
	ds_read2_b64 v[4:7], v4 offset0:90 offset1:233
	ds_read2_b64 v[12:15], v12 offset0:56 offset1:199
	;; [unrolled: 1-line block ×3, first 2 shown]
	ds_read_b64 v[42:43], v70 offset:13728
.LBB0_5:
	s_or_b64 exec, exec, s[0:1]
	s_waitcnt lgkmcnt(0)
	v_pk_add_f32 v[38:39], v[2:3], v[42:43] neg_lo:[0,1] neg_hi:[0,1]
	s_mov_b32 s26, 0xbf52af12
	v_pk_add_f32 v[36:37], v[42:43], v[2:3]
	v_pk_add_f32 v[34:35], v[16:17], v[22:23] neg_lo:[0,1] neg_hi:[0,1]
	s_mov_b32 s0, 0x3f116cb1
	v_pk_mul_f32 v[40:41], v[38:39], s[26:27] op_sel_hi:[1,0]
	s_mov_b32 s14, 0xbf6f5d39
	v_pk_add_f32 v[32:33], v[22:23], v[16:17]
	v_pk_fma_f32 v[52:53], v[36:37], s[0:1], v[40:41] op_sel:[0,0,1] op_sel_hi:[1,0,0]
	v_pk_fma_f32 v[54:55], v[36:37], s[0:1], v[40:41] op_sel:[0,0,1] op_sel_hi:[1,0,0] neg_lo:[0,0,1] neg_hi:[0,0,1]
	s_mov_b32 s6, 0xbeb58ec6
	v_pk_mul_f32 v[44:45], v[34:35], s[14:15] op_sel_hi:[1,0]
	v_mov_b32_e32 v40, v52
	v_mov_b32_e32 v41, v55
	v_pk_fma_f32 v[56:57], v[32:33], s[6:7], v[44:45] op_sel:[0,0,1] op_sel_hi:[1,0,0]
	v_pk_fma_f32 v[58:59], v[32:33], s[6:7], v[44:45] op_sel:[0,0,1] op_sel_hi:[1,0,0] neg_lo:[0,0,1] neg_hi:[0,0,1]
	v_pk_add_f32 v[30:31], v[18:19], v[20:21] neg_lo:[0,1] neg_hi:[0,1]
	v_pk_add_f32 v[40:41], v[40:41], v[0:1]
	v_mov_b32_e32 v44, v56
	v_mov_b32_e32 v45, v59
	s_mov_b32 s22, 0xbe750f2a
	v_pk_add_f32 v[28:29], v[20:21], v[18:19]
	v_pk_add_f32 v[40:41], v[44:45], v[40:41]
	s_mov_b32 s20, 0xbf788fa5
	v_pk_mul_f32 v[44:45], v[30:31], s[22:23] op_sel_hi:[1,0]
	v_pk_add_f32 v[26:27], v[8:9], v[14:15] neg_lo:[0,1] neg_hi:[0,1]
	v_pk_fma_f32 v[60:61], v[28:29], s[20:21], v[44:45] op_sel:[0,0,1] op_sel_hi:[1,0,0]
	v_pk_fma_f32 v[62:63], v[28:29], s[20:21], v[44:45] op_sel:[0,0,1] op_sel_hi:[1,0,0] neg_lo:[0,0,1] neg_hi:[0,0,1]
	v_mov_b32_e32 v44, v60
	v_mov_b32_e32 v45, v63
	s_mov_b32 s36, 0x3f29c268
	v_pk_add_f32 v[24:25], v[14:15], v[8:9]
	v_pk_add_f32 v[40:41], v[44:45], v[40:41]
	s_mov_b32 s18, 0xbf3f9e67
	v_pk_mul_f32 v[44:45], v[26:27], s[36:37] op_sel_hi:[1,0]
	s_mov_b32 s16, 0xbeedf032
	v_pk_fma_f32 v[64:65], v[24:25], s[18:19], v[44:45] op_sel:[0,0,1] op_sel_hi:[1,0,0]
	v_pk_fma_f32 v[66:67], v[24:25], s[18:19], v[44:45] op_sel:[0,0,1] op_sel_hi:[1,0,0] neg_lo:[0,0,1] neg_hi:[0,0,1]
	v_mov_b32_e32 v44, v64
	v_mov_b32_e32 v45, v67
	v_pk_add_f32 v[46:47], v[44:45], v[40:41]
	s_mov_b32 s24, 0x3f62ad3f
	v_pk_mul_f32 v[40:41], v[38:39], s[16:17] op_sel_hi:[1,0]
	v_pk_mul_f32 v[44:45], v[34:35], s[26:27] op_sel_hi:[1,0]
	v_pk_fma_f32 v[74:75], v[36:37], s[24:25], v[40:41] op_sel:[0,0,1] op_sel_hi:[1,0,0]
	v_pk_fma_f32 v[76:77], v[36:37], s[24:25], v[40:41] op_sel:[0,0,1] op_sel_hi:[1,0,0] neg_lo:[0,0,1] neg_hi:[0,0,1]
	v_mov_b32_e32 v40, v74
	v_mov_b32_e32 v41, v77
	v_pk_fma_f32 v[78:79], v[32:33], s[0:1], v[44:45] op_sel:[0,0,1] op_sel_hi:[1,0,0]
	v_pk_fma_f32 v[80:81], v[32:33], s[0:1], v[44:45] op_sel:[0,0,1] op_sel_hi:[1,0,0] neg_lo:[0,0,1] neg_hi:[0,0,1]
	v_mov_b32_e32 v44, v78
	v_mov_b32_e32 v45, v81
	v_pk_add_f32 v[40:41], v[40:41], v[0:1]
	s_mov_b32 s40, 0xbf7e222b
	v_pk_add_f32 v[40:41], v[44:45], v[40:41]
	s_mov_b32 s28, 0x3df6dbef
	v_pk_mul_f32 v[44:45], v[30:31], s[40:41] op_sel_hi:[1,0]
	s_mov_b32 s34, 0xbf29c268
	v_pk_fma_f32 v[86:87], v[28:29], s[28:29], v[44:45] op_sel:[0,0,1] op_sel_hi:[1,0,0]
	v_pk_fma_f32 v[88:89], v[28:29], s[28:29], v[44:45] op_sel:[0,0,1] op_sel_hi:[1,0,0] neg_lo:[0,0,1] neg_hi:[0,0,1]
	v_mov_b32_e32 v44, v86
	v_mov_b32_e32 v45, v89
	v_pk_add_f32 v[40:41], v[44:45], v[40:41]
	v_pk_mul_f32 v[44:45], v[26:27], s[14:15] op_sel_hi:[1,0]
	s_mov_b32 s30, 0x3f7e222b
	v_pk_fma_f32 v[90:91], v[24:25], s[6:7], v[44:45] op_sel:[0,0,1] op_sel_hi:[1,0,0]
	v_pk_fma_f32 v[92:93], v[24:25], s[6:7], v[44:45] op_sel:[0,0,1] op_sel_hi:[1,0,0] neg_lo:[0,0,1] neg_hi:[0,0,1]
	v_mov_b32_e32 v44, v90
	v_mov_b32_e32 v45, v93
	v_pk_add_f32 v[48:49], v[44:45], v[40:41]
	v_pk_add_f32 v[44:45], v[10:11], v[12:13] neg_lo:[0,1] neg_hi:[0,1]
	v_pk_add_f32 v[40:41], v[12:13], v[10:11]
	v_pk_mul_f32 v[50:51], v[44:45], s[34:35] op_sel_hi:[1,0]
	s_mov_b32 s38, 0x3eedf032
	v_pk_fma_f32 v[98:99], v[40:41], s[18:19], v[50:51] op_sel:[0,0,1] op_sel_hi:[1,0,0]
	v_pk_fma_f32 v[100:101], v[40:41], s[18:19], v[50:51] op_sel:[0,0,1] op_sel_hi:[1,0,0] neg_lo:[0,0,1] neg_hi:[0,0,1]
	v_mov_b32_e32 v50, v98
	v_mov_b32_e32 v51, v101
	v_pk_add_f32 v[68:69], v[50:51], v[48:49]
	v_pk_mul_f32 v[48:49], v[44:45], s[30:31] op_sel_hi:[1,0]
	v_pk_add_f32 v[50:51], v[4:5], v[6:7] neg_lo:[0,1] neg_hi:[0,1]
	v_pk_fma_f32 v[82:83], v[40:41], s[28:29], v[48:49] op_sel:[0,0,1] op_sel_hi:[1,0,0]
	v_pk_fma_f32 v[84:85], v[40:41], s[28:29], v[48:49] op_sel:[0,0,1] op_sel_hi:[1,0,0] neg_lo:[0,0,1] neg_hi:[0,0,1]
	v_mov_b32_e32 v48, v82
	v_mov_b32_e32 v49, v85
	v_pk_add_f32 v[46:47], v[48:49], v[46:47]
	v_pk_add_f32 v[48:49], v[6:7], v[4:5]
	v_pk_mul_f32 v[94:95], v[50:51], s[22:23] op_sel_hi:[1,0]
	v_pk_mul_f32 v[96:97], v[50:51], s[38:39] op_sel_hi:[1,0]
	v_pk_fma_f32 v[102:103], v[48:49], s[20:21], v[94:95] op_sel:[0,0,1] op_sel_hi:[1,0,0]
	v_pk_fma_f32 v[104:105], v[48:49], s[20:21], v[94:95] op_sel:[0,0,1] op_sel_hi:[1,0,0] neg_lo:[0,0,1] neg_hi:[0,0,1]
	v_mov_b32_e32 v94, v102
	v_mov_b32_e32 v95, v105
	v_pk_add_f32 v[68:69], v[94:95], v[68:69]
	v_pk_fma_f32 v[94:95], v[48:49], s[24:25], v[96:97] op_sel:[0,0,1] op_sel_hi:[1,0,0]
	v_pk_fma_f32 v[96:97], v[48:49], s[24:25], v[96:97] op_sel:[0,0,1] op_sel_hi:[1,0,0] neg_lo:[0,0,1] neg_hi:[0,0,1]
	v_mov_b32_e32 v106, v94
	v_mov_b32_e32 v107, v97
	v_pk_add_f32 v[46:47], v[106:107], v[46:47]
	v_mul_lo_u16_e32 v154, 13, v73
	s_barrier
	s_and_saveexec_b64 s[16:17], s[2:3]
	s_cbranch_execz .LBB0_7
; %bb.6:
	v_pk_add_f32 v[2:3], v[2:3], v[0:1]
	v_mov_b32_e32 v77, v75
	v_pk_add_f32 v[2:3], v[16:17], v[2:3]
	v_mov_b32_e32 v81, v79
	;; [unrolled: 2-line block ×5, first 2 shown]
	v_pk_add_f32 v[2:3], v[4:5], v[2:3]
	v_pk_add_f32 v[4:5], v[76:77], v[0:1]
	;; [unrolled: 1-line block ×11, first 2 shown]
	v_mov_b32_e32 v105, v103
	v_lshlrev_b32_e32 v71, 3, v154
	v_pk_add_f32 v[2:3], v[42:43], v[2:3]
	v_pk_add_f32 v[4:5], v[104:105], v[4:5]
	ds_write2_b64 v71, v[2:3], v[4:5] offset1:1
	v_pk_mul_f32 v[4:5], v[38:39], s[40:41] op_sel_hi:[1,0]
	v_pk_mul_f32 v[10:11], v[34:35], s[22:23] op_sel_hi:[1,0]
	v_pk_fma_f32 v[6:7], v[36:37], s[28:29], v[4:5] op_sel:[0,0,1] op_sel_hi:[1,0,0] neg_lo:[0,0,1] neg_hi:[0,0,1]
	v_pk_fma_f32 v[4:5], v[36:37], s[28:29], v[4:5] op_sel:[0,0,1] op_sel_hi:[1,0,0]
	v_mov_b32_e32 v8, v6
	v_mov_b32_e32 v9, v5
	v_pk_fma_f32 v[12:13], v[32:33], s[20:21], v[10:11] op_sel:[0,0,1] op_sel_hi:[1,0,0] neg_lo:[0,0,1] neg_hi:[0,0,1]
	v_pk_fma_f32 v[10:11], v[32:33], s[20:21], v[10:11] op_sel:[0,0,1] op_sel_hi:[1,0,0]
	v_pk_add_f32 v[8:9], v[8:9], v[0:1]
	v_mov_b32_e32 v14, v12
	v_mov_b32_e32 v15, v11
	s_mov_b32 s42, 0x3f6f5d39
	v_pk_add_f32 v[8:9], v[14:15], v[8:9]
	v_pk_mul_f32 v[14:15], v[30:31], s[42:43] op_sel_hi:[1,0]
	v_mov_b32_e32 v55, v53
	v_pk_fma_f32 v[16:17], v[28:29], s[6:7], v[14:15] op_sel:[0,0,1] op_sel_hi:[1,0,0] neg_lo:[0,0,1] neg_hi:[0,0,1]
	v_pk_fma_f32 v[14:15], v[28:29], s[6:7], v[14:15] op_sel:[0,0,1] op_sel_hi:[1,0,0]
	v_mov_b32_e32 v18, v16
	v_mov_b32_e32 v19, v15
	v_pk_add_f32 v[8:9], v[18:19], v[8:9]
	v_pk_mul_f32 v[18:19], v[26:27], s[38:39] op_sel_hi:[1,0]
	v_pk_add_f32 v[2:3], v[54:55], v[0:1]
	v_pk_fma_f32 v[20:21], v[24:25], s[24:25], v[18:19] op_sel:[0,0,1] op_sel_hi:[1,0,0] neg_lo:[0,0,1] neg_hi:[0,0,1]
	v_pk_fma_f32 v[18:19], v[24:25], s[24:25], v[18:19] op_sel:[0,0,1] op_sel_hi:[1,0,0]
	v_mov_b32_e32 v22, v20
	v_mov_b32_e32 v23, v19
	v_pk_add_f32 v[8:9], v[22:23], v[8:9]
	v_pk_mul_f32 v[22:23], v[44:45], s[26:27] op_sel_hi:[1,0]
	v_mov_b32_e32 v59, v57
	v_pk_fma_f32 v[42:43], v[40:41], s[0:1], v[22:23] op_sel:[0,0,1] op_sel_hi:[1,0,0] neg_lo:[0,0,1] neg_hi:[0,0,1]
	v_pk_fma_f32 v[22:23], v[40:41], s[0:1], v[22:23] op_sel:[0,0,1] op_sel_hi:[1,0,0]
	v_pk_add_f32 v[2:3], v[58:59], v[2:3]
	v_mov_b32_e32 v63, v61
	v_mov_b32_e32 v52, v42
	;; [unrolled: 1-line block ×3, first 2 shown]
	v_pk_add_f32 v[2:3], v[62:63], v[2:3]
	v_mov_b32_e32 v67, v65
	v_pk_add_f32 v[8:9], v[52:53], v[8:9]
	v_pk_mul_f32 v[52:53], v[50:51], s[34:35] op_sel_hi:[1,0]
	v_pk_add_f32 v[2:3], v[66:67], v[2:3]
	v_mov_b32_e32 v85, v83
	v_pk_fma_f32 v[54:55], v[48:49], s[18:19], v[52:53] op_sel:[0,0,1] op_sel_hi:[1,0,0] neg_lo:[0,0,1] neg_hi:[0,0,1]
	v_pk_fma_f32 v[52:53], v[48:49], s[18:19], v[52:53] op_sel:[0,0,1] op_sel_hi:[1,0,0]
	v_pk_add_f32 v[2:3], v[84:85], v[2:3]
	v_mov_b32_e32 v97, v95
	v_mov_b32_e32 v56, v54
	v_mov_b32_e32 v57, v53
	v_pk_add_f32 v[2:3], v[96:97], v[2:3]
	v_pk_add_f32 v[8:9], v[56:57], v[8:9]
	ds_write2_b64 v71, v[2:3], v[8:9] offset0:2 offset1:3
	v_pk_mul_f32 v[2:3], v[38:39], s[14:15] op_sel_hi:[1,0]
	v_pk_mul_f32 v[58:59], v[34:35], s[36:37] op_sel_hi:[1,0]
	v_pk_fma_f32 v[8:9], v[36:37], s[6:7], v[2:3] op_sel:[0,0,1] op_sel_hi:[1,0,0] neg_lo:[0,0,1] neg_hi:[0,0,1]
	v_pk_fma_f32 v[2:3], v[36:37], s[6:7], v[2:3] op_sel:[0,0,1] op_sel_hi:[1,0,0]
	v_mov_b32_e32 v56, v8
	v_mov_b32_e32 v57, v3
	v_pk_fma_f32 v[60:61], v[32:33], s[18:19], v[58:59] op_sel:[0,0,1] op_sel_hi:[1,0,0] neg_lo:[0,0,1] neg_hi:[0,0,1]
	v_pk_fma_f32 v[58:59], v[32:33], s[18:19], v[58:59] op_sel:[0,0,1] op_sel_hi:[1,0,0]
	v_pk_add_f32 v[56:57], v[56:57], v[0:1]
	v_mov_b32_e32 v62, v60
	v_mov_b32_e32 v63, v59
	v_pk_add_f32 v[56:57], v[62:63], v[56:57]
	v_pk_mul_f32 v[62:63], v[30:31], s[38:39] op_sel_hi:[1,0]
	s_mov_b32 s36, 0x3e750f2a
	v_pk_fma_f32 v[64:65], v[28:29], s[24:25], v[62:63] op_sel:[0,0,1] op_sel_hi:[1,0,0] neg_lo:[0,0,1] neg_hi:[0,0,1]
	v_pk_fma_f32 v[62:63], v[28:29], s[24:25], v[62:63] op_sel:[0,0,1] op_sel_hi:[1,0,0]
	v_mov_b32_e32 v66, v64
	v_mov_b32_e32 v67, v63
	v_pk_add_f32 v[56:57], v[66:67], v[56:57]
	v_pk_mul_f32 v[66:67], v[26:27], s[40:41] op_sel_hi:[1,0]
	s_mov_b32 s40, 0x3f52af12
	v_pk_fma_f32 v[74:75], v[24:25], s[28:29], v[66:67] op_sel:[0,0,1] op_sel_hi:[1,0,0] neg_lo:[0,0,1] neg_hi:[0,0,1]
	v_pk_fma_f32 v[66:67], v[24:25], s[28:29], v[66:67] op_sel:[0,0,1] op_sel_hi:[1,0,0]
	v_mov_b32_e32 v76, v74
	v_mov_b32_e32 v77, v67
	v_pk_add_f32 v[56:57], v[76:77], v[56:57]
	v_pk_mul_f32 v[76:77], v[44:45], s[36:37] op_sel_hi:[1,0]
	v_pk_mul_f32 v[90:91], v[34:35], s[30:31] op_sel_hi:[1,0]
	v_pk_fma_f32 v[78:79], v[40:41], s[20:21], v[76:77] op_sel:[0,0,1] op_sel_hi:[1,0,0] neg_lo:[0,0,1] neg_hi:[0,0,1]
	v_pk_fma_f32 v[76:77], v[40:41], s[20:21], v[76:77] op_sel:[0,0,1] op_sel_hi:[1,0,0]
	v_mov_b32_e32 v80, v78
	v_mov_b32_e32 v81, v77
	v_pk_add_f32 v[56:57], v[80:81], v[56:57]
	v_pk_mul_f32 v[80:81], v[50:51], s[40:41] op_sel_hi:[1,0]
	v_pk_fma_f32 v[92:93], v[32:33], s[28:29], v[90:91] op_sel:[0,0,1] op_sel_hi:[1,0,0] neg_lo:[0,0,1] neg_hi:[0,0,1]
	v_pk_fma_f32 v[82:83], v[48:49], s[0:1], v[80:81] op_sel:[0,0,1] op_sel_hi:[1,0,0] neg_lo:[0,0,1] neg_hi:[0,0,1]
	v_pk_fma_f32 v[80:81], v[48:49], s[0:1], v[80:81] op_sel:[0,0,1] op_sel_hi:[1,0,0]
	v_mov_b32_e32 v84, v82
	v_mov_b32_e32 v85, v81
	v_pk_add_f32 v[56:57], v[84:85], v[56:57]
	v_pk_mul_f32 v[84:85], v[38:39], s[34:35] op_sel_hi:[1,0]
	v_pk_fma_f32 v[90:91], v[32:33], s[28:29], v[90:91] op_sel:[0,0,1] op_sel_hi:[1,0,0]
	v_pk_fma_f32 v[86:87], v[36:37], s[18:19], v[84:85] op_sel:[0,0,1] op_sel_hi:[1,0,0] neg_lo:[0,0,1] neg_hi:[0,0,1]
	v_pk_fma_f32 v[84:85], v[36:37], s[18:19], v[84:85] op_sel:[0,0,1] op_sel_hi:[1,0,0]
	v_mov_b32_e32 v88, v86
	v_mov_b32_e32 v89, v85
	v_pk_add_f32 v[88:89], v[88:89], v[0:1]
	v_mov_b32_e32 v94, v92
	v_mov_b32_e32 v95, v91
	v_pk_add_f32 v[88:89], v[94:95], v[88:89]
	v_pk_mul_f32 v[94:95], v[30:31], s[26:27] op_sel_hi:[1,0]
	v_pk_mul_f32 v[38:39], v[38:39], s[22:23] op_sel_hi:[1,0]
	v_pk_fma_f32 v[96:97], v[28:29], s[0:1], v[94:95] op_sel:[0,0,1] op_sel_hi:[1,0,0] neg_lo:[0,0,1] neg_hi:[0,0,1]
	v_pk_fma_f32 v[94:95], v[28:29], s[0:1], v[94:95] op_sel:[0,0,1] op_sel_hi:[1,0,0]
	v_mov_b32_e32 v98, v96
	v_mov_b32_e32 v99, v95
	v_pk_add_f32 v[88:89], v[98:99], v[88:89]
	v_pk_mul_f32 v[98:99], v[26:27], s[36:37] op_sel_hi:[1,0]
	v_pk_mul_f32 v[34:35], v[34:35], s[38:39] op_sel_hi:[1,0]
	v_pk_fma_f32 v[100:101], v[24:25], s[20:21], v[98:99] op_sel:[0,0,1] op_sel_hi:[1,0,0] neg_lo:[0,0,1] neg_hi:[0,0,1]
	v_pk_fma_f32 v[98:99], v[24:25], s[20:21], v[98:99] op_sel:[0,0,1] op_sel_hi:[1,0,0]
	;; [unrolled: 7-line block ×4, first 2 shown]
	v_mov_b32_e32 v110, v108
	v_mov_b32_e32 v111, v107
	v_pk_add_f32 v[88:89], v[110:111], v[88:89]
	ds_write2_b64 v71, v[56:57], v[88:89] offset0:4 offset1:5
	v_pk_fma_f32 v[56:57], v[36:37], s[20:21], v[38:39] op_sel:[0,0,1] op_sel_hi:[1,0,0] neg_lo:[0,0,1] neg_hi:[0,0,1]
	v_pk_fma_f32 v[36:37], v[36:37], s[20:21], v[38:39] op_sel:[0,0,1] op_sel_hi:[1,0,0]
	v_pk_fma_f32 v[38:39], v[32:33], s[24:25], v[34:35] op_sel:[0,0,1] op_sel_hi:[1,0,0] neg_lo:[0,0,1] neg_hi:[0,0,1]
	v_pk_fma_f32 v[32:33], v[32:33], s[24:25], v[34:35] op_sel:[0,0,1] op_sel_hi:[1,0,0]
	v_mov_b32_e32 v34, v56
	v_mov_b32_e32 v35, v37
	v_pk_add_f32 v[34:35], v[34:35], v[0:1]
	v_mov_b32_e32 v88, v38
	v_mov_b32_e32 v89, v33
	v_pk_add_f32 v[34:35], v[88:89], v[34:35]
	v_pk_fma_f32 v[88:89], v[28:29], s[18:19], v[30:31] op_sel:[0,0,1] op_sel_hi:[1,0,0] neg_lo:[0,0,1] neg_hi:[0,0,1]
	v_pk_fma_f32 v[28:29], v[28:29], s[18:19], v[30:31] op_sel:[0,0,1] op_sel_hi:[1,0,0]
	v_mov_b32_e32 v30, v88
	v_mov_b32_e32 v31, v29
	v_pk_add_f32 v[30:31], v[30:31], v[34:35]
	v_pk_fma_f32 v[34:35], v[24:25], s[0:1], v[26:27] op_sel:[0,0,1] op_sel_hi:[1,0,0] neg_lo:[0,0,1] neg_hi:[0,0,1]
	v_pk_fma_f32 v[24:25], v[24:25], s[0:1], v[26:27] op_sel:[0,0,1] op_sel_hi:[1,0,0]
	v_mov_b32_e32 v26, v34
	v_mov_b32_e32 v27, v25
	v_pk_add_f32 v[26:27], v[26:27], v[30:31]
	v_pk_mul_f32 v[30:31], v[44:45], s[14:15] op_sel_hi:[1,0]
	v_mov_b32_e32 v37, v57
	v_pk_fma_f32 v[44:45], v[40:41], s[6:7], v[30:31] op_sel:[0,0,1] op_sel_hi:[1,0,0] neg_lo:[0,0,1] neg_hi:[0,0,1]
	v_pk_fma_f32 v[30:31], v[40:41], s[6:7], v[30:31] op_sel:[0,0,1] op_sel_hi:[1,0,0]
	v_mov_b32_e32 v33, v39
	v_pk_add_f32 v[36:37], v[36:37], v[0:1]
	v_mov_b32_e32 v40, v44
	v_mov_b32_e32 v41, v31
	v_pk_add_f32 v[32:33], v[32:33], v[36:37]
	v_mov_b32_e32 v29, v89
	v_pk_add_f32 v[26:27], v[40:41], v[26:27]
	v_pk_mul_f32 v[40:41], v[50:51], s[30:31] op_sel_hi:[1,0]
	v_pk_add_f32 v[28:29], v[28:29], v[32:33]
	v_mov_b32_e32 v25, v35
	v_pk_fma_f32 v[50:51], v[48:49], s[28:29], v[40:41] op_sel:[0,0,1] op_sel_hi:[1,0,0] neg_lo:[0,0,1] neg_hi:[0,0,1]
	v_pk_fma_f32 v[40:41], v[48:49], s[28:29], v[40:41] op_sel:[0,0,1] op_sel_hi:[1,0,0]
	v_pk_add_f32 v[24:25], v[24:25], v[28:29]
	v_mov_b32_e32 v31, v45
	v_mov_b32_e32 v48, v50
	;; [unrolled: 1-line block ×3, first 2 shown]
	v_pk_add_f32 v[24:25], v[30:31], v[24:25]
	v_mov_b32_e32 v41, v51
	v_pk_add_f32 v[26:27], v[48:49], v[26:27]
	v_pk_add_f32 v[24:25], v[40:41], v[24:25]
	v_mov_b32_e32 v85, v87
	v_mov_b32_e32 v3, v9
	;; [unrolled: 1-line block ×3, first 2 shown]
	ds_write2_b64 v71, v[26:27], v[24:25] offset0:6 offset1:7
	v_pk_add_f32 v[24:25], v[84:85], v[0:1]
	v_mov_b32_e32 v91, v93
	v_pk_add_f32 v[2:3], v[2:3], v[0:1]
	v_mov_b32_e32 v59, v61
	;; [unrolled: 2-line block ×15, first 2 shown]
	v_pk_add_f32 v[24:25], v[106:107], v[24:25]
	v_pk_add_f32 v[2:3], v[80:81], v[2:3]
	;; [unrolled: 1-line block ×3, first 2 shown]
	ds_write2_b64 v71, v[24:25], v[2:3] offset0:8 offset1:9
	ds_write2_b64 v71, v[0:1], v[46:47] offset0:10 offset1:11
	ds_write_b64 v71, v[68:69] offset:96
.LBB0_7:
	s_or_b64 exec, exec, s[16:17]
	s_movk_i32 s0, 0x4f
	v_mul_lo_u16_sdwa v0, v73, s0 dst_sel:DWORD dst_unused:UNUSED_PAD src0_sel:BYTE_0 src1_sel:DWORD
	v_lshrrev_b16_e32 v31, 10, v0
	v_mul_lo_u16_e32 v0, 13, v31
	v_sub_u16_e32 v0, v73, v0
	v_and_b32_e32 v71, 0xff, v0
	v_mul_u32_u24_e32 v0, 10, v71
	v_lshlrev_b32_e32 v20, 3, v0
	s_load_dwordx4 s[4:7], s[4:5], 0x0
	s_waitcnt lgkmcnt(0)
	s_barrier
	global_load_dwordx4 v[16:19], v20, s[10:11]
	global_load_dwordx4 v[12:15], v20, s[10:11] offset:16
	global_load_dwordx4 v[8:11], v20, s[10:11] offset:32
	;; [unrolled: 1-line block ×4, first 2 shown]
	ds_read2_b64 v[20:23], v70 offset1:169
	v_add_u32_e32 v30, 0x800, v70
	v_add_u32_e32 v32, 0x1400, v70
	v_add_u32_e32 v36, 0x1e00, v70
	v_add_u32_e32 v40, 0x2800, v70
	ds_read_b64 v[28:29], v70 offset:13520
	ds_read2_b64 v[24:27], v30 offset0:82 offset1:251
	ds_read2_b64 v[32:35], v32 offset0:36 offset1:205
	;; [unrolled: 1-line block ×4, first 2 shown]
	s_mov_b32 s26, 0xbf0a6770
	s_mov_b32 s18, 0x3f575c64
	;; [unrolled: 1-line block ×12, first 2 shown]
	s_waitcnt lgkmcnt(0)
	s_barrier
	s_waitcnt vmcnt(4)
	v_pk_mul_f32 v[44:45], v[22:23], v[16:17] op_sel:[0,1]
	v_mov_b32_e32 v48, v19
	s_waitcnt vmcnt(3)
	v_pk_mul_f32 v[50:51], v[26:27], v[12:13] op_sel:[0,1]
	v_mov_b32_e32 v52, v15
	;; [unrolled: 3-line block ×3, first 2 shown]
	v_pk_fma_f32 v[66:67], v[22:23], v[16:17], v[44:45] op_sel:[0,0,1] op_sel_hi:[1,1,0] neg_lo:[0,0,1] neg_hi:[0,0,1]
	v_pk_fma_f32 v[22:23], v[22:23], v[16:17], v[44:45] op_sel:[0,0,1] op_sel_hi:[1,0,0]
	v_pk_mul_f32 v[44:45], v[24:25], v[48:49] op_sel_hi:[1,0]
	v_pk_fma_f32 v[48:49], v[26:27], v[12:13], v[50:51] op_sel:[0,0,1] op_sel_hi:[1,1,0] neg_lo:[0,0,1] neg_hi:[0,0,1]
	v_pk_fma_f32 v[26:27], v[26:27], v[12:13], v[50:51] op_sel:[0,0,1] op_sel_hi:[1,0,0]
	v_pk_mul_f32 v[50:51], v[32:33], v[52:53] op_sel_hi:[1,0]
	;; [unrolled: 3-line block ×3, first 2 shown]
	v_mov_b32_e32 v67, v23
	v_pk_fma_f32 v[22:23], v[24:25], v[18:19], v[44:45] op_sel:[0,0,1] op_sel_hi:[1,1,0] neg_lo:[0,0,1] neg_hi:[0,0,1]
	v_pk_fma_f32 v[24:25], v[24:25], v[18:19], v[44:45] op_sel:[0,0,1] op_sel_hi:[1,0,0]
	v_mov_b32_e32 v49, v27
	v_pk_fma_f32 v[44:45], v[32:33], v[14:15], v[50:51] op_sel:[0,0,1] op_sel_hi:[1,1,0] neg_lo:[0,0,1] neg_hi:[0,0,1]
	v_pk_fma_f32 v[26:27], v[32:33], v[14:15], v[50:51] op_sel:[0,0,1] op_sel_hi:[1,0,0]
	;; [unrolled: 3-line block ×3, first 2 shown]
	v_mov_b32_e32 v23, v25
	v_pk_add_f32 v[24:25], v[20:21], v[66:67]
	v_mov_b32_e32 v33, v35
	v_pk_add_f32 v[34:35], v[24:25], v[22:23]
	s_waitcnt vmcnt(1)
	v_pk_mul_f32 v[58:59], v[38:39], v[0:1] op_sel:[0,1]
	v_mov_b32_e32 v60, v3
	s_waitcnt vmcnt(0)
	v_pk_mul_f32 v[62:63], v[42:43], v[4:5] op_sel:[0,1]
	v_mov_b32_e32 v45, v27
	v_pk_add_f32 v[34:35], v[34:35], v[48:49]
	v_mov_b32_e32 v64, v7
	v_pk_fma_f32 v[56:57], v[38:39], v[0:1], v[58:59] op_sel:[0,0,1] op_sel_hi:[1,1,0] neg_lo:[0,0,1] neg_hi:[0,0,1]
	v_pk_fma_f32 v[38:39], v[38:39], v[0:1], v[58:59] op_sel:[0,0,1] op_sel_hi:[1,0,0]
	v_pk_mul_f32 v[58:59], v[40:41], v[60:61] op_sel_hi:[1,0]
	v_pk_fma_f32 v[60:61], v[42:43], v[4:5], v[62:63] op_sel:[0,0,1] op_sel_hi:[1,1,0] neg_lo:[0,0,1] neg_hi:[0,0,1]
	v_pk_fma_f32 v[42:43], v[42:43], v[4:5], v[62:63] op_sel:[0,0,1] op_sel_hi:[1,0,0]
	v_pk_add_f32 v[34:35], v[34:35], v[44:45]
	v_pk_mul_f32 v[62:63], v[28:29], v[64:65] op_sel_hi:[1,0]
	v_mov_b32_e32 v61, v43
	v_pk_add_f32 v[34:35], v[34:35], v[52:53]
	v_mov_b32_e32 v57, v39
	v_pk_fma_f32 v[36:37], v[40:41], v[2:3], v[58:59] op_sel:[0,0,1] op_sel_hi:[1,1,0] neg_lo:[0,0,1] neg_hi:[0,0,1]
	v_pk_fma_f32 v[38:39], v[40:41], v[2:3], v[58:59] op_sel:[0,0,1] op_sel_hi:[1,0,0]
	v_pk_fma_f32 v[40:41], v[28:29], v[6:7], v[62:63] op_sel:[0,0,1] op_sel_hi:[1,1,0] neg_lo:[0,0,1] neg_hi:[0,0,1]
	v_pk_fma_f32 v[28:29], v[28:29], v[6:7], v[62:63] op_sel:[0,0,1] op_sel_hi:[1,0,0]
	v_pk_add_f32 v[62:63], v[22:23], v[60:61]
	v_pk_add_f32 v[64:65], v[22:23], v[60:61] neg_lo:[0,1] neg_hi:[0,1]
	v_pk_add_f32 v[22:23], v[52:53], v[32:33]
	v_pk_add_f32 v[76:77], v[52:53], v[32:33] neg_lo:[0,1] neg_hi:[0,1]
	v_pk_add_f32 v[32:33], v[34:35], v[32:33]
	v_mov_b32_e32 v37, v39
	v_mov_b32_e32 v41, v29
	v_pk_add_f32 v[32:33], v[32:33], v[56:57]
	v_pk_add_f32 v[42:43], v[66:67], v[40:41] neg_lo:[0,1] neg_hi:[0,1]
	v_pk_add_f32 v[32:33], v[32:33], v[36:37]
	v_pk_add_f32 v[38:39], v[66:67], v[40:41]
	v_pk_mul_f32 v[50:51], v[42:43], s[26:27] op_sel:[1,0] op_sel_hi:[0,0]
	v_pk_add_f32 v[32:33], v[32:33], v[60:61]
	v_pk_add_f32 v[28:29], v[48:49], v[36:37]
	v_pk_add_f32 v[74:75], v[48:49], v[36:37] neg_lo:[0,1] neg_hi:[0,1]
	v_pk_add_f32 v[48:49], v[32:33], v[40:41]
	v_pk_fma_f32 v[32:33], v[38:39], s[18:19], v[50:51] op_sel_hi:[1,0,1]
	v_pk_fma_f32 v[34:35], v[38:39], s[18:19], v[50:51] op_sel_hi:[1,0,1] neg_lo:[0,0,1] neg_hi:[0,0,1]
	v_pk_mul_f32 v[40:41], v[64:65], s[34:35] op_sel:[1,0] op_sel_hi:[0,0]
	v_pk_add_f32 v[24:25], v[44:45], v[56:57]
	v_pk_add_f32 v[26:27], v[44:45], v[56:57] neg_lo:[0,1] neg_hi:[0,1]
	v_mov_b32_e32 v36, v32
	v_mov_b32_e32 v37, v35
	v_pk_fma_f32 v[44:45], v[62:63], s[28:29], v[40:41] op_sel_hi:[1,0,1]
	v_pk_fma_f32 v[40:41], v[62:63], s[28:29], v[40:41] op_sel_hi:[1,0,1] neg_lo:[0,0,1] neg_hi:[0,0,1]
	v_pk_add_f32 v[36:37], v[20:21], v[36:37]
	v_mov_b32_e32 v50, v44
	v_mov_b32_e32 v51, v41
	v_pk_add_f32 v[36:37], v[50:51], v[36:37]
	v_pk_mul_f32 v[50:51], v[74:75], s[30:31] op_sel:[1,0] op_sel_hi:[0,0]
	v_pk_fma_f32 v[52:53], v[28:29], s[0:1], v[50:51] op_sel_hi:[1,0,1]
	v_pk_fma_f32 v[50:51], v[28:29], s[0:1], v[50:51] op_sel_hi:[1,0,1] neg_lo:[0,0,1] neg_hi:[0,0,1]
	v_mov_b32_e32 v54, v52
	v_mov_b32_e32 v55, v51
	v_pk_add_f32 v[36:37], v[54:55], v[36:37]
	v_pk_mul_f32 v[54:55], v[26:27], s[16:17] op_sel:[1,0] op_sel_hi:[0,0]
	v_pk_fma_f32 v[56:57], v[24:25], s[14:15], v[54:55] op_sel_hi:[1,0,1]
	v_pk_fma_f32 v[54:55], v[24:25], s[14:15], v[54:55] op_sel_hi:[1,0,1] neg_lo:[0,0,1] neg_hi:[0,0,1]
	v_mov_b32_e32 v35, v33
	v_mov_b32_e32 v58, v56
	;; [unrolled: 1-line block ×3, first 2 shown]
	v_pk_add_f32 v[32:33], v[20:21], v[34:35]
	v_mov_b32_e32 v41, v45
	v_pk_add_f32 v[36:37], v[58:59], v[36:37]
	v_pk_mul_f32 v[58:59], v[76:77], s[22:23] op_sel:[1,0] op_sel_hi:[0,0]
	v_pk_add_f32 v[32:33], v[40:41], v[32:33]
	v_mov_b32_e32 v51, v53
	v_pk_add_f32 v[32:33], v[50:51], v[32:33]
	v_mov_b32_e32 v55, v57
	v_pk_fma_f32 v[34:35], v[22:23], s[20:21], v[58:59] op_sel_hi:[1,0,1] neg_lo:[0,0,1] neg_hi:[0,0,1]
	v_pk_fma_f32 v[40:41], v[22:23], s[20:21], v[58:59] op_sel_hi:[1,0,1]
	v_pk_add_f32 v[32:33], v[54:55], v[32:33]
	v_mov_b32_e32 v44, v34
	v_mov_b32_e32 v45, v41
	v_pk_add_f32 v[50:51], v[44:45], v[32:33]
	v_mov_b32_e32 v41, v35
	v_pk_mul_f32 v[32:33], v[42:43], s[34:35] op_sel:[1,0] op_sel_hi:[0,0]
	v_pk_add_f32 v[44:45], v[40:41], v[36:37]
	v_pk_fma_f32 v[34:35], v[38:39], s[28:29], v[32:33] op_sel_hi:[1,0,1]
	v_pk_fma_f32 v[32:33], v[38:39], s[28:29], v[32:33] op_sel_hi:[1,0,1] neg_lo:[0,0,1] neg_hi:[0,0,1]
	v_pk_mul_f32 v[40:41], v[64:65], s[16:17] op_sel:[1,0] op_sel_hi:[0,0]
	s_mov_b32 s34, 0x3e903f40
	v_mov_b32_e32 v37, v33
	v_pk_fma_f32 v[56:57], v[62:63], s[14:15], v[40:41] op_sel_hi:[1,0,1]
	v_pk_fma_f32 v[40:41], v[62:63], s[14:15], v[40:41] op_sel_hi:[1,0,1] neg_lo:[0,0,1] neg_hi:[0,0,1]
	v_pk_mul_f32 v[52:53], v[74:75], s[34:35] op_sel:[1,0] op_sel_hi:[0,0]
	v_mov_b32_e32 v33, v35
	v_mov_b32_e32 v59, v41
	v_pk_fma_f32 v[60:61], v[28:29], s[20:21], v[52:53] op_sel_hi:[1,0,1]
	v_pk_fma_f32 v[52:53], v[28:29], s[20:21], v[52:53] op_sel_hi:[1,0,1] neg_lo:[0,0,1] neg_hi:[0,0,1]
	v_pk_add_f32 v[32:33], v[20:21], v[32:33]
	v_mov_b32_e32 v41, v57
	v_mov_b32_e32 v67, v53
	v_pk_mul_f32 v[54:55], v[26:27], s[24:25] op_sel:[1,0] op_sel_hi:[0,0]
	v_pk_add_f32 v[32:33], v[40:41], v[32:33]
	v_mov_b32_e32 v53, v61
	v_pk_mul_f32 v[40:41], v[42:43], s[30:31] op_sel:[1,0] op_sel_hi:[0,0]
	v_pk_fma_f32 v[78:79], v[24:25], s[0:1], v[54:55] op_sel_hi:[1,0,1]
	v_pk_fma_f32 v[54:55], v[24:25], s[0:1], v[54:55] op_sel_hi:[1,0,1] neg_lo:[0,0,1] neg_hi:[0,0,1]
	v_pk_add_f32 v[32:33], v[52:53], v[32:33]
	v_pk_fma_f32 v[82:83], v[38:39], s[0:1], v[40:41] op_sel_hi:[1,0,1]
	v_pk_fma_f32 v[40:41], v[38:39], s[0:1], v[40:41] op_sel_hi:[1,0,1] neg_lo:[0,0,1] neg_hi:[0,0,1]
	v_pk_mul_f32 v[52:53], v[64:65], s[34:35] op_sel:[1,0] op_sel_hi:[0,0]
	v_mov_b32_e32 v81, v55
	v_mov_b32_e32 v55, v79
	;; [unrolled: 1-line block ×3, first 2 shown]
	v_pk_fma_f32 v[84:85], v[62:63], s[20:21], v[52:53] op_sel_hi:[1,0,1]
	v_pk_fma_f32 v[52:53], v[62:63], s[20:21], v[52:53] op_sel_hi:[1,0,1] neg_lo:[0,0,1] neg_hi:[0,0,1]
	s_mov_b32 s34, 0x3f68dda4
	v_mov_b32_e32 v41, v83
	v_pk_add_f32 v[32:33], v[54:55], v[32:33]
	v_mov_b32_e32 v57, v53
	v_pk_mul_f32 v[54:55], v[74:75], s[34:35] op_sel:[1,0] op_sel_hi:[0,0]
	v_pk_add_f32 v[40:41], v[20:21], v[40:41]
	v_mov_b32_e32 v53, v85
	v_pk_fma_f32 v[86:87], v[28:29], s[28:29], v[54:55] op_sel_hi:[1,0,1]
	v_pk_fma_f32 v[54:55], v[28:29], s[28:29], v[54:55] op_sel_hi:[1,0,1] neg_lo:[0,0,1] neg_hi:[0,0,1]
	v_pk_add_f32 v[40:41], v[52:53], v[40:41]
	v_pk_mul_f32 v[52:53], v[26:27], s[26:27] op_sel:[1,0] op_sel_hi:[0,0]
	v_mov_b32_e32 v61, v55
	v_mov_b32_e32 v55, v87
	v_pk_fma_f32 v[88:89], v[24:25], s[18:19], v[52:53] op_sel_hi:[1,0,1]
	v_pk_fma_f32 v[52:53], v[24:25], s[18:19], v[52:53] op_sel_hi:[1,0,1] neg_lo:[0,0,1] neg_hi:[0,0,1]
	v_pk_add_f32 v[40:41], v[54:55], v[40:41]
	v_mov_b32_e32 v79, v53
	v_mov_b32_e32 v53, v89
	v_pk_add_f32 v[40:41], v[52:53], v[40:41]
	v_pk_mul_f32 v[52:53], v[76:77], s[36:37] op_sel:[1,0] op_sel_hi:[0,0]
	v_pk_fma_f32 v[90:91], v[22:23], s[18:19], v[52:53] op_sel_hi:[1,0,1] neg_lo:[0,0,1] neg_hi:[0,0,1]
	v_pk_fma_f32 v[92:93], v[22:23], s[18:19], v[52:53] op_sel_hi:[1,0,1]
	v_mov_b32_e32 v52, v90
	v_mov_b32_e32 v53, v93
	v_pk_add_f32 v[52:53], v[52:53], v[32:33]
	v_pk_mul_f32 v[32:33], v[76:77], s[16:17] op_sel:[1,0] op_sel_hi:[0,0]
	v_pk_fma_f32 v[94:95], v[22:23], s[14:15], v[32:33] op_sel_hi:[1,0,1] neg_lo:[0,0,1] neg_hi:[0,0,1]
	v_pk_fma_f32 v[32:33], v[22:23], s[14:15], v[32:33] op_sel_hi:[1,0,1]
	v_mov_b32_e32 v54, v94
	v_mov_b32_e32 v55, v33
	v_pk_add_f32 v[54:55], v[54:55], v[40:41]
	v_pk_mul_f32 v[40:41], v[42:43], s[16:17] op_sel:[1,0] op_sel_hi:[0,0]
	v_pk_fma_f32 v[96:97], v[38:39], s[14:15], v[40:41] op_sel_hi:[1,0,1]
	v_pk_fma_f32 v[40:41], v[38:39], s[14:15], v[40:41] op_sel_hi:[1,0,1] neg_lo:[0,0,1] neg_hi:[0,0,1]
	v_pk_mul_f32 v[100:101], v[64:65], s[24:25] op_sel:[1,0] op_sel_hi:[0,0]
	v_mov_b32_e32 v98, v96
	v_mov_b32_e32 v99, v41
	v_pk_fma_f32 v[102:103], v[62:63], s[0:1], v[100:101] op_sel_hi:[1,0,1]
	v_pk_fma_f32 v[100:101], v[62:63], s[0:1], v[100:101] op_sel_hi:[1,0,1] neg_lo:[0,0,1] neg_hi:[0,0,1]
	v_pk_add_f32 v[98:99], v[20:21], v[98:99]
	v_mov_b32_e32 v104, v102
	v_mov_b32_e32 v105, v101
	;; [unrolled: 1-line block ×4, first 2 shown]
	v_pk_add_f32 v[98:99], v[104:105], v[98:99]
	v_pk_mul_f32 v[104:105], v[74:75], s[26:27] op_sel:[1,0] op_sel_hi:[0,0]
	v_mov_b32_e32 v58, v56
	v_mov_b32_e32 v56, v84
	v_pk_add_f32 v[34:35], v[20:21], v[34:35]
	v_pk_fma_f32 v[106:107], v[28:29], s[18:19], v[104:105] op_sel_hi:[1,0,1]
	v_pk_fma_f32 v[104:105], v[28:29], s[18:19], v[104:105] op_sel_hi:[1,0,1] neg_lo:[0,0,1] neg_hi:[0,0,1]
	v_pk_add_f32 v[36:37], v[20:21], v[36:37]
	v_mov_b32_e32 v66, v60
	v_pk_add_f32 v[34:35], v[56:57], v[34:35]
	v_mov_b32_e32 v60, v86
	v_mov_b32_e32 v108, v106
	v_mov_b32_e32 v109, v105
	v_pk_add_f32 v[36:37], v[58:59], v[36:37]
	v_mov_b32_e32 v80, v78
	v_pk_add_f32 v[34:35], v[60:61], v[34:35]
	v_mov_b32_e32 v78, v88
	v_pk_add_f32 v[98:99], v[108:109], v[98:99]
	v_pk_mul_f32 v[108:109], v[26:27], s[22:23] op_sel:[1,0] op_sel_hi:[0,0]
	v_pk_add_f32 v[36:37], v[66:67], v[36:37]
	v_pk_add_f32 v[34:35], v[78:79], v[34:35]
	v_mov_b32_e32 v33, v95
	v_mov_b32_e32 v41, v97
	v_pk_fma_f32 v[110:111], v[24:25], s[20:21], v[108:109] op_sel_hi:[1,0,1]
	v_pk_fma_f32 v[108:109], v[24:25], s[20:21], v[108:109] op_sel_hi:[1,0,1] neg_lo:[0,0,1] neg_hi:[0,0,1]
	v_pk_add_f32 v[36:37], v[80:81], v[36:37]
	v_mov_b32_e32 v93, v91
	v_pk_add_f32 v[56:57], v[32:33], v[34:35]
	v_pk_mul_f32 v[32:33], v[76:77], s[34:35] op_sel:[1,0] op_sel_hi:[0,0]
	v_pk_add_f32 v[34:35], v[20:21], v[40:41]
	v_mov_b32_e32 v101, v103
	v_mov_b32_e32 v112, v110
	;; [unrolled: 1-line block ×3, first 2 shown]
	v_pk_add_f32 v[58:59], v[92:93], v[36:37]
	v_pk_add_f32 v[34:35], v[100:101], v[34:35]
	v_mov_b32_e32 v105, v107
	v_pk_fma_f32 v[36:37], v[22:23], s[28:29], v[32:33] op_sel_hi:[1,0,1] neg_lo:[0,0,1] neg_hi:[0,0,1]
	v_pk_fma_f32 v[32:33], v[22:23], s[28:29], v[32:33] op_sel_hi:[1,0,1]
	v_pk_add_f32 v[98:99], v[112:113], v[98:99]
	v_pk_add_f32 v[34:35], v[104:105], v[34:35]
	v_mov_b32_e32 v109, v111
	v_mov_b32_e32 v41, v33
	;; [unrolled: 1-line block ×3, first 2 shown]
	v_pk_add_f32 v[34:35], v[108:109], v[34:35]
	v_mov_b32_e32 v40, v36
	v_pk_add_f32 v[66:67], v[32:33], v[98:99]
	v_pk_mul_f32 v[32:33], v[42:43], s[22:23] op_sel:[1,0] op_sel_hi:[0,0]
	v_pk_add_f32 v[60:61], v[40:41], v[34:35]
	v_pk_fma_f32 v[34:35], v[38:39], s[20:21], v[32:33] op_sel_hi:[1,0,1]
	v_pk_fma_f32 v[32:33], v[38:39], s[20:21], v[32:33] op_sel_hi:[1,0,1] neg_lo:[0,0,1] neg_hi:[0,0,1]
	v_pk_mul_f32 v[38:39], v[64:65], s[36:37] op_sel:[1,0] op_sel_hi:[0,0]
	v_mov_b32_e32 v36, v34
	v_mov_b32_e32 v37, v33
	v_pk_fma_f32 v[40:41], v[62:63], s[18:19], v[38:39] op_sel_hi:[1,0,1]
	v_pk_fma_f32 v[38:39], v[62:63], s[18:19], v[38:39] op_sel_hi:[1,0,1] neg_lo:[0,0,1] neg_hi:[0,0,1]
	v_pk_add_f32 v[36:37], v[20:21], v[36:37]
	v_mov_b32_e32 v42, v40
	v_mov_b32_e32 v43, v39
	v_pk_add_f32 v[36:37], v[42:43], v[36:37]
	v_pk_mul_f32 v[42:43], v[74:75], s[16:17] op_sel:[1,0] op_sel_hi:[0,0]
	v_pk_fma_f32 v[62:63], v[28:29], s[14:15], v[42:43] op_sel_hi:[1,0,1]
	v_pk_fma_f32 v[28:29], v[28:29], s[14:15], v[42:43] op_sel_hi:[1,0,1] neg_lo:[0,0,1] neg_hi:[0,0,1]
	v_mov_b32_e32 v42, v62
	v_mov_b32_e32 v43, v29
	v_pk_mul_f32 v[26:27], v[26:27], s[34:35] op_sel:[1,0] op_sel_hi:[0,0]
	v_mov_b32_e32 v33, v35
	v_pk_add_f32 v[36:37], v[42:43], v[36:37]
	v_pk_fma_f32 v[42:43], v[24:25], s[28:29], v[26:27] op_sel_hi:[1,0,1]
	v_pk_fma_f32 v[24:25], v[24:25], s[28:29], v[26:27] op_sel_hi:[1,0,1] neg_lo:[0,0,1] neg_hi:[0,0,1]
	v_pk_add_f32 v[20:21], v[20:21], v[32:33]
	v_mov_b32_e32 v39, v41
	v_mov_b32_e32 v26, v42
	;; [unrolled: 1-line block ×3, first 2 shown]
	v_pk_add_f32 v[20:21], v[38:39], v[20:21]
	v_mov_b32_e32 v29, v63
	v_pk_add_f32 v[26:27], v[26:27], v[36:37]
	v_pk_mul_f32 v[36:37], v[76:77], s[30:31] op_sel:[1,0] op_sel_hi:[0,0]
	v_pk_add_f32 v[20:21], v[28:29], v[20:21]
	v_mov_b32_e32 v25, v43
	v_pk_add_f32 v[20:21], v[24:25], v[20:21]
	v_pk_fma_f32 v[24:25], v[22:23], s[0:1], v[36:37] op_sel_hi:[1,0,1] neg_lo:[0,0,1] neg_hi:[0,0,1]
	v_pk_fma_f32 v[22:23], v[22:23], s[0:1], v[36:37] op_sel_hi:[1,0,1]
	v_mov_b32_e32 v28, v24
	v_mov_b32_e32 v29, v23
	v_pk_add_f32 v[62:63], v[28:29], v[20:21]
	v_mov_b32_e32 v23, v25
	v_mul_u32_u24_e32 v20, 0x8f, v31
	v_pk_add_f32 v[64:65], v[22:23], v[26:27]
	v_add_lshl_u32 v155, v20, v71, 3
	ds_write2_b64 v155, v[48:49], v[50:51] offset1:13
	ds_write2_b64 v155, v[52:53], v[54:55] offset0:26 offset1:39
	ds_write2_b64 v155, v[60:61], v[62:63] offset0:52 offset1:65
	;; [unrolled: 1-line block ×4, first 2 shown]
	ds_write_b64 v155, v[44:45] offset:1040
	s_waitcnt lgkmcnt(0)
	s_barrier
	s_and_saveexec_b64 s[0:1], s[2:3]
	s_cbranch_execz .LBB0_9
; %bb.8:
	v_add_u32_e32 v20, 0x1000, v70
	ds_read2_b64 v[48:51], v70 offset1:143
	ds_read2_b64 v[52:55], v30 offset0:30 offset1:173
	ds_read2_b64 v[60:63], v20 offset0:60 offset1:203
	v_add_u32_e32 v20, 0x1800, v70
	ds_read2_b64 v[64:67], v20 offset0:90 offset1:233
	v_add_u32_e32 v20, 0x2200, v70
	;; [unrolled: 2-line block ×3, first 2 shown]
	ds_read2_b64 v[44:47], v20 offset0:22 offset1:165
	ds_read_b64 v[68:69], v70 offset:13728
.LBB0_9:
	s_or_b64 exec, exec, s[0:1]
	v_add_u32_e32 v20, 0xffffff71, v73
	v_cndmask_b32_e64 v20, v20, v73, s[2:3]
	v_mul_hi_i32_i24_e32 v21, 0x60, v20
	v_mul_i32_i24_e32 v20, 0x60, v20
	v_lshl_add_u64 v[74:75], s[10:11], 0, v[20:21]
	global_load_dwordx4 v[40:43], v[74:75], off offset:1120
	global_load_dwordx4 v[20:23], v[74:75], off offset:1056
	;; [unrolled: 1-line block ×6, first 2 shown]
	s_waitcnt lgkmcnt(0)
	v_mov_b32_e32 v76, v69
	v_mov_b32_e32 v74, v47
	s_mov_b32 s14, 0xbeedf032
	s_mov_b32 s20, 0xbf52af12
	s_mov_b32 s10, 0x3f62ad3f
	s_mov_b32 s0, 0x3f116cb1
	s_mov_b32 s22, 0xbf7e222b
	s_mov_b32 s16, 0xbf6f5d39
	s_mov_b32 s18, 0x3df6dbef
	s_mov_b32 s28, 0xbe750f2a
	s_mov_b32 s24, 0xbf788fa5
	s_mov_b32 s30, 0x3eedf032
	s_mov_b32 s26, 0x3f6f5d39
	s_mov_b32 s36, 0xbf29c268
	s_mov_b32 s34, 0x3f7e222b
	s_mov_b32 s42, 0x3f29c268
	s_mov_b32 s40, 0x3e750f2a
	s_mov_b32 s38, 0x3f52af12
	s_waitcnt vmcnt(5)
	v_pk_mul_f32 v[76:77], v[76:77], v[42:43] op_sel_hi:[0,1]
	s_waitcnt vmcnt(4)
	v_pk_mul_f32 v[78:79], v[54:55], v[20:21] op_sel:[1,0]
	v_pk_mul_f32 v[82:83], v[60:61], v[22:23] op_sel:[1,0]
	s_waitcnt vmcnt(3)
	v_pk_mul_f32 v[84:85], v[62:63], v[32:33] op_sel:[1,0]
	s_waitcnt vmcnt(1)
	;; [unrolled: 2-line block ×3, first 2 shown]
	v_pk_mul_f32 v[96:97], v[50:51], v[24:25] op_sel:[0,1]
	v_mov_b32_e32 v98, v27
	v_pk_fma_f32 v[80:81], v[68:69], v[42:43], v[76:77] op_sel:[0,0,1] op_sel_hi:[1,1,0] neg_lo:[0,0,1] neg_hi:[0,0,1]
	v_pk_fma_f32 v[68:69], v[68:69], v[42:43], v[76:77] op_sel:[0,0,1] op_sel_hi:[0,1,0]
	v_pk_fma_f32 v[102:103], v[54:55], v[20:21], v[78:79] op_sel:[0,0,1] op_sel_hi:[1,1,0] neg_lo:[0,0,1] neg_hi:[0,0,1]
	v_pk_fma_f32 v[54:55], v[54:55], v[20:21], v[78:79] op_sel:[0,0,1] op_sel_hi:[0,1,0]
	;; [unrolled: 2-line block ×6, first 2 shown]
	v_pk_mul_f32 v[84:85], v[52:53], v[98:99] op_sel_hi:[1,0]
	v_pk_mul_f32 v[74:75], v[74:75], v[40:41] op_sel_hi:[0,1]
	v_mov_b32_e32 v83, v45
	v_mov_b32_e32 v79, v51
	v_pk_fma_f32 v[44:45], v[52:53], v[26:27], v[84:85] op_sel:[0,0,1] op_sel_hi:[1,1,0] neg_lo:[0,0,1] neg_hi:[0,0,1]
	v_pk_fma_f32 v[50:51], v[52:53], v[26:27], v[84:85] op_sel:[0,0,1] op_sel_hi:[1,0,0]
	v_pk_mul_f32 v[86:87], v[64:65], v[34:35] op_sel:[1,0]
	v_pk_mul_f32 v[88:89], v[66:67], v[28:29] op_sel:[1,0]
	;; [unrolled: 1-line block ×3, first 2 shown]
	v_pk_fma_f32 v[100:101], v[46:47], v[40:41], v[74:75] op_sel:[0,0,1] op_sel_hi:[1,1,0] neg_lo:[0,0,1] neg_hi:[0,0,1]
	v_pk_fma_f32 v[74:75], v[46:47], v[40:41], v[74:75] op_sel:[0,0,1] op_sel_hi:[0,1,0]
	v_mov_b32_e32 v81, v69
	v_mov_b32_e32 v45, v51
	v_pk_add_f32 v[50:51], v[48:49], v[78:79]
	v_pk_mul_f32 v[92:93], v[58:59], v[36:37] op_sel:[1,0]
	v_pk_fma_f32 v[46:47], v[64:65], v[34:35], v[86:87] op_sel:[0,0,1] op_sel_hi:[1,1,0] neg_lo:[0,0,1] neg_hi:[0,0,1]
	v_pk_fma_f32 v[64:65], v[64:65], v[34:35], v[86:87] op_sel:[0,0,1] op_sel_hi:[0,1,0]
	v_pk_fma_f32 v[60:61], v[66:67], v[28:29], v[88:89] op_sel:[0,0,1] op_sel_hi:[1,1,0] neg_lo:[0,0,1] neg_hi:[0,0,1]
	v_pk_fma_f32 v[66:67], v[66:67], v[28:29], v[88:89] op_sel:[0,0,1] op_sel_hi:[0,1,0]
	;; [unrolled: 2-line block ×3, first 2 shown]
	v_mov_b32_e32 v101, v75
	v_mov_b32_e32 v103, v55
	v_pk_add_f32 v[54:55], v[78:79], v[80:81] neg_lo:[0,1] neg_hi:[0,1]
	v_pk_add_f32 v[50:51], v[50:51], v[44:45]
	v_pk_fma_f32 v[88:89], v[58:59], v[36:37], v[92:93] op_sel:[0,0,1] op_sel_hi:[1,1,0] neg_lo:[0,0,1] neg_hi:[0,0,1]
	v_pk_fma_f32 v[58:59], v[58:59], v[36:37], v[92:93] op_sel:[0,0,1] op_sel_hi:[0,1,0]
	v_mov_b32_e32 v105, v77
	v_mov_b32_e32 v47, v65
	v_mov_b32_e32 v61, v67
	v_mov_b32_e32 v87, v57
	v_pk_add_f32 v[52:53], v[78:79], v[80:81]
	v_pk_mul_f32 v[56:57], v[54:55], s[14:15] op_sel_hi:[1,0]
	v_pk_mul_f32 v[64:65], v[54:55], s[20:21] op_sel_hi:[1,0]
	v_pk_add_f32 v[90:91], v[44:45], v[100:101]
	v_pk_add_f32 v[44:45], v[44:45], v[100:101] neg_lo:[0,1] neg_hi:[0,1]
	v_pk_add_f32 v[66:67], v[50:51], v[102:103]
	v_mov_b32_e32 v107, v63
	v_mov_b32_e32 v89, v59
	v_pk_fma_f32 v[58:59], v[52:53], s[10:11], v[56:57] op_sel:[0,0,1] op_sel_hi:[1,0,0]
	v_pk_fma_f32 v[62:63], v[52:53], s[10:11], v[56:57] op_sel:[0,0,1] op_sel_hi:[1,0,0] neg_lo:[0,0,1] neg_hi:[0,0,1]
	v_pk_fma_f32 v[50:51], v[52:53], s[0:1], v[64:65] op_sel:[0,0,1] op_sel_hi:[1,0,0]
	v_pk_fma_f32 v[56:57], v[52:53], s[0:1], v[64:65] op_sel:[0,0,1] op_sel_hi:[1,0,0] neg_lo:[0,0,1] neg_hi:[0,0,1]
	v_pk_mul_f32 v[64:65], v[44:45], s[20:21] op_sel:[1,0] op_sel_hi:[0,0]
	v_pk_add_f32 v[66:67], v[66:67], v[104:105]
	v_pk_fma_f32 v[76:77], v[90:91], s[0:1], v[64:65] op_sel_hi:[1,0,1]
	v_pk_fma_f32 v[78:79], v[90:91], s[0:1], v[64:65] op_sel_hi:[1,0,1] neg_lo:[0,0,1] neg_hi:[0,0,1]
	v_pk_add_f32 v[64:65], v[66:67], v[106:107]
	v_mov_b32_e32 v68, v58
	v_pk_add_f32 v[64:65], v[64:65], v[46:47]
	v_mov_b32_e32 v69, v63
	;; [unrolled: 2-line block ×4, first 2 shown]
	v_pk_add_f32 v[64:65], v[64:65], v[88:89]
	v_pk_add_f32 v[96:97], v[102:103], v[82:83] neg_lo:[0,1] neg_hi:[0,1]
	v_pk_add_f32 v[66:67], v[48:49], v[68:69]
	v_pk_add_f32 v[68:69], v[48:49], v[74:75]
	v_mov_b32_e32 v74, v76
	v_mov_b32_e32 v75, v79
	v_pk_add_f32 v[64:65], v[64:65], v[82:83]
	v_pk_add_f32 v[94:95], v[102:103], v[82:83]
	v_pk_mul_f32 v[82:83], v[96:97], s[22:23] op_sel:[1,0] op_sel_hi:[0,0]
	v_pk_add_f32 v[92:93], v[64:65], v[100:101]
	v_pk_add_f32 v[74:75], v[74:75], v[66:67]
	s_mov_b32 s14, 0xbeb58ec6
	v_pk_mul_f32 v[66:67], v[44:45], s[16:17] op_sel:[1,0] op_sel_hi:[0,0]
	v_pk_fma_f32 v[98:99], v[94:95], s[18:19], v[82:83] op_sel_hi:[1,0,1]
	v_pk_fma_f32 v[100:101], v[94:95], s[18:19], v[82:83] op_sel_hi:[1,0,1] neg_lo:[0,0,1] neg_hi:[0,0,1]
	v_pk_fma_f32 v[64:65], v[90:91], s[14:15], v[66:67] op_sel_hi:[1,0,1]
	v_pk_fma_f32 v[66:67], v[90:91], s[14:15], v[66:67] op_sel_hi:[1,0,1] neg_lo:[0,0,1] neg_hi:[0,0,1]
	v_mov_b32_e32 v82, v98
	v_mov_b32_e32 v83, v101
	;; [unrolled: 1-line block ×4, first 2 shown]
	v_pk_add_f32 v[102:103], v[82:83], v[74:75]
	v_pk_mul_f32 v[74:75], v[96:97], s[28:29] op_sel:[1,0] op_sel_hi:[0,0]
	v_pk_mul_f32 v[114:115], v[54:55], s[28:29] op_sel_hi:[1,0]
	v_pk_add_f32 v[68:69], v[84:85], v[68:69]
	v_pk_fma_f32 v[82:83], v[94:95], s[24:25], v[74:75] op_sel_hi:[1,0,1]
	v_pk_fma_f32 v[84:85], v[94:95], s[24:25], v[74:75] op_sel_hi:[1,0,1] neg_lo:[0,0,1] neg_hi:[0,0,1]
	v_pk_fma_f32 v[116:117], v[52:53], s[24:25], v[114:115] op_sel:[0,0,1] op_sel_hi:[1,0,0] neg_lo:[0,0,1] neg_hi:[0,0,1]
	v_pk_fma_f32 v[114:115], v[52:53], s[24:25], v[114:115] op_sel:[0,0,1] op_sel_hi:[1,0,0]
	v_pk_mul_f32 v[120:121], v[44:45], s[30:31] op_sel:[1,0] op_sel_hi:[0,0]
	v_mov_b32_e32 v74, v82
	v_mov_b32_e32 v75, v85
	;; [unrolled: 1-line block ×3, first 2 shown]
	v_pk_fma_f32 v[122:123], v[90:91], s[10:11], v[120:121] op_sel_hi:[1,0,1] neg_lo:[0,0,1] neg_hi:[0,0,1]
	v_pk_fma_f32 v[120:121], v[90:91], s[10:11], v[120:121] op_sel_hi:[1,0,1]
	v_mov_b32_e32 v115, v117
	v_pk_add_f32 v[108:109], v[74:75], v[68:69]
	v_pk_mul_f32 v[74:75], v[96:97], s[26:27] op_sel:[1,0] op_sel_hi:[0,0]
	v_mov_b32_e32 v118, v116
	v_mov_b32_e32 v125, v121
	v_pk_add_f32 v[114:115], v[48:49], v[114:115]
	v_mov_b32_e32 v121, v123
	s_mov_b32 s26, 0xbf3f9e67
	v_pk_mul_f32 v[116:117], v[96:97], s[36:37] op_sel:[1,0] op_sel_hi:[0,0]
	v_pk_add_f32 v[114:115], v[120:121], v[114:115]
	v_pk_fma_f32 v[120:121], v[94:95], s[26:27], v[116:117] op_sel_hi:[1,0,1] neg_lo:[0,0,1] neg_hi:[0,0,1]
	v_pk_fma_f32 v[116:117], v[94:95], s[26:27], v[116:117] op_sel_hi:[1,0,1]
	v_pk_add_f32 v[118:119], v[48:49], v[118:119]
	v_mov_b32_e32 v123, v117
	v_mov_b32_e32 v117, v121
	v_pk_add_f32 v[114:115], v[116:117], v[114:115]
	v_pk_add_f32 v[116:117], v[104:105], v[88:89]
	v_pk_add_f32 v[88:89], v[104:105], v[88:89] neg_lo:[0,1] neg_hi:[0,1]
	v_mov_b32_e32 v124, v122
	v_pk_mul_f32 v[104:105], v[88:89], s[16:17] op_sel:[1,0] op_sel_hi:[0,0]
	v_pk_mul_f32 v[134:135], v[54:55], s[36:37] op_sel_hi:[1,0]
	v_pk_add_f32 v[118:119], v[124:125], v[118:119]
	v_mov_b32_e32 v122, v120
	v_pk_fma_f32 v[120:121], v[116:117], s[14:15], v[104:105] op_sel_hi:[1,0,1]
	v_pk_fma_f32 v[104:105], v[116:117], s[14:15], v[104:105] op_sel_hi:[1,0,1] neg_lo:[0,0,1] neg_hi:[0,0,1]
	v_pk_fma_f32 v[136:137], v[52:53], s[26:27], v[134:135] op_sel:[0,0,1] op_sel_hi:[1,0,0] neg_lo:[0,0,1] neg_hi:[0,0,1]
	v_pk_fma_f32 v[134:135], v[52:53], s[26:27], v[134:135] op_sel:[0,0,1] op_sel_hi:[1,0,0]
	v_pk_add_f32 v[118:119], v[122:123], v[118:119]
	v_mov_b32_e32 v122, v120
	v_mov_b32_e32 v123, v105
	;; [unrolled: 1-line block ×5, first 2 shown]
	v_pk_mul_f32 v[136:137], v[44:45], s[34:35] op_sel:[1,0] op_sel_hi:[0,0]
	v_pk_add_f32 v[102:103], v[122:123], v[102:103]
	v_pk_mul_f32 v[122:123], v[88:89], s[42:43] op_sel:[1,0] op_sel_hi:[0,0]
	v_pk_fma_f32 v[140:141], v[90:91], s[18:19], v[136:137] op_sel_hi:[1,0,1] neg_lo:[0,0,1] neg_hi:[0,0,1]
	v_pk_fma_f32 v[136:137], v[90:91], s[18:19], v[136:137] op_sel_hi:[1,0,1]
	v_pk_mul_f32 v[110:111], v[96:97], s[30:31] op_sel:[1,0] op_sel_hi:[0,0]
	v_pk_fma_f32 v[124:125], v[116:117], s[26:27], v[122:123] op_sel_hi:[1,0,1]
	v_pk_fma_f32 v[122:123], v[116:117], s[26:27], v[122:123] op_sel_hi:[1,0,1] neg_lo:[0,0,1] neg_hi:[0,0,1]
	v_mov_b32_e32 v143, v137
	v_pk_add_f32 v[134:135], v[48:49], v[134:135]
	v_mov_b32_e32 v137, v141
	v_pk_mul_f32 v[96:97], v[96:97], s[20:21] op_sel:[1,0] op_sel_hi:[0,0]
	v_pk_fma_f32 v[68:69], v[94:95], s[14:15], v[74:75] op_sel_hi:[1,0,1]
	v_pk_fma_f32 v[74:75], v[94:95], s[14:15], v[74:75] op_sel_hi:[1,0,1] neg_lo:[0,0,1] neg_hi:[0,0,1]
	v_pk_fma_f32 v[112:113], v[94:95], s[10:11], v[110:111] op_sel_hi:[1,0,1]
	v_pk_fma_f32 v[110:111], v[94:95], s[10:11], v[110:111] op_sel_hi:[1,0,1] neg_lo:[0,0,1] neg_hi:[0,0,1]
	v_mov_b32_e32 v126, v124
	v_mov_b32_e32 v127, v123
	v_pk_add_f32 v[138:139], v[48:49], v[138:139]
	v_mov_b32_e32 v142, v140
	v_pk_add_f32 v[134:135], v[136:137], v[134:135]
	v_pk_fma_f32 v[136:137], v[94:95], s[0:1], v[96:97] op_sel_hi:[1,0,1] neg_lo:[0,0,1] neg_hi:[0,0,1]
	v_pk_fma_f32 v[94:95], v[94:95], s[0:1], v[96:97] op_sel_hi:[1,0,1]
	v_pk_add_f32 v[108:109], v[126:127], v[108:109]
	v_pk_mul_f32 v[126:127], v[88:89], s[30:31] op_sel:[1,0] op_sel_hi:[0,0]
	v_pk_mul_f32 v[130:131], v[88:89], s[22:23] op_sel:[1,0] op_sel_hi:[0,0]
	v_pk_add_f32 v[138:139], v[142:143], v[138:139]
	v_pk_mul_f32 v[142:143], v[88:89], s[40:41] op_sel:[1,0] op_sel_hi:[0,0]
	v_mov_b32_e32 v97, v95
	v_mov_b32_e32 v95, v137
	v_pk_fma_f32 v[128:129], v[116:117], s[10:11], v[126:127] op_sel_hi:[1,0,1]
	v_pk_fma_f32 v[126:127], v[116:117], s[10:11], v[126:127] op_sel_hi:[1,0,1] neg_lo:[0,0,1] neg_hi:[0,0,1]
	v_pk_fma_f32 v[132:133], v[116:117], s[18:19], v[130:131] op_sel_hi:[1,0,1]
	v_pk_fma_f32 v[130:131], v[116:117], s[18:19], v[130:131] op_sel_hi:[1,0,1] neg_lo:[0,0,1] neg_hi:[0,0,1]
	v_mov_b32_e32 v96, v136
	v_pk_add_f32 v[94:95], v[94:95], v[134:135]
	v_pk_fma_f32 v[134:135], v[116:117], s[24:25], v[142:143] op_sel_hi:[1,0,1] neg_lo:[0,0,1] neg_hi:[0,0,1]
	v_pk_fma_f32 v[136:137], v[116:117], s[24:25], v[142:143] op_sel_hi:[1,0,1]
	v_pk_mul_f32 v[116:117], v[116:117], s[0:1] op_sel_hi:[1,0]
	v_pk_add_f32 v[96:97], v[96:97], v[138:139]
	v_mov_b32_e32 v138, v134
	v_mov_b32_e32 v139, v137
	;; [unrolled: 1-line block ×3, first 2 shown]
	v_pk_fma_f32 v[134:135], v[88:89], s[38:39], v[116:117] op_sel:[1,0,0] op_sel_hi:[0,0,1] neg_lo:[1,0,0] neg_hi:[1,0,0]
	v_pk_fma_f32 v[88:89], v[88:89], s[38:39], v[116:117] op_sel:[1,0,0] op_sel_hi:[0,0,1]
	v_mov_b32_e32 v117, v89
	v_mov_b32_e32 v89, v135
	v_pk_add_f32 v[88:89], v[88:89], v[114:115]
	v_pk_add_f32 v[114:115], v[106:107], v[86:87]
	v_pk_add_f32 v[86:87], v[106:107], v[86:87] neg_lo:[0,1] neg_hi:[0,1]
	v_mov_b32_e32 v116, v134
	v_pk_mul_f32 v[106:107], v[86:87], s[36:37] op_sel:[1,0] op_sel_hi:[0,0]
	v_pk_add_f32 v[116:117], v[116:117], v[118:119]
	v_pk_fma_f32 v[118:119], v[114:115], s[26:27], v[106:107] op_sel_hi:[1,0,1]
	v_pk_fma_f32 v[106:107], v[114:115], s[26:27], v[106:107] op_sel_hi:[1,0,1] neg_lo:[0,0,1] neg_hi:[0,0,1]
	v_mov_b32_e32 v134, v118
	v_mov_b32_e32 v135, v107
	v_pk_add_f32 v[102:103], v[134:135], v[102:103]
	v_pk_mul_f32 v[134:135], v[86:87], s[34:35] op_sel:[1,0] op_sel_hi:[0,0]
	v_pk_add_f32 v[94:95], v[136:137], v[94:95]
	v_pk_fma_f32 v[136:137], v[114:115], s[18:19], v[134:135] op_sel_hi:[1,0,1]
	v_pk_fma_f32 v[134:135], v[114:115], s[18:19], v[134:135] op_sel_hi:[1,0,1] neg_lo:[0,0,1] neg_hi:[0,0,1]
	v_pk_add_f32 v[96:97], v[138:139], v[96:97]
	v_mov_b32_e32 v138, v136
	v_mov_b32_e32 v139, v135
	v_pk_add_f32 v[108:109], v[138:139], v[108:109]
	v_pk_mul_f32 v[138:139], v[54:55], s[16:17] op_sel_hi:[1,0]
	v_mov_b32_e32 v63, v59
	v_pk_fma_f32 v[140:141], v[52:53], s[14:15], v[138:139] op_sel:[0,0,1] op_sel_hi:[1,0,0] neg_lo:[0,0,1] neg_hi:[0,0,1]
	v_pk_fma_f32 v[138:139], v[52:53], s[14:15], v[138:139] op_sel:[0,0,1] op_sel_hi:[1,0,0]
	v_mov_b32_e32 v142, v140
	v_mov_b32_e32 v143, v139
	;; [unrolled: 1-line block ×3, first 2 shown]
	v_pk_mul_f32 v[140:141], v[44:45], s[28:29] op_sel:[1,0] op_sel_hi:[0,0]
	v_pk_mul_f32 v[44:45], v[44:45], s[42:43] op_sel:[1,0] op_sel_hi:[0,0]
	v_pk_fma_f32 v[144:145], v[90:91], s[24:25], v[140:141] op_sel_hi:[1,0,1]
	v_pk_fma_f32 v[140:141], v[90:91], s[24:25], v[140:141] op_sel_hi:[1,0,1] neg_lo:[0,0,1] neg_hi:[0,0,1]
	v_pk_fma_f32 v[146:147], v[90:91], s[26:27], v[44:45] op_sel_hi:[1,0,1] neg_lo:[0,0,1] neg_hi:[0,0,1]
	v_pk_fma_f32 v[90:91], v[90:91], s[26:27], v[44:45] op_sel_hi:[1,0,1]
	v_pk_add_f32 v[44:45], v[48:49], v[142:143]
	v_mov_b32_e32 v142, v146
	v_mov_b32_e32 v143, v91
	v_pk_add_f32 v[142:143], v[142:143], v[44:45]
	v_mov_b32_e32 v91, v147
	v_pk_add_f32 v[44:45], v[92:93], v[80:81]
	v_pk_add_f32 v[80:81], v[48:49], v[138:139]
	;; [unrolled: 1-line block ×4, first 2 shown]
	v_mov_b32_e32 v91, v111
	v_mov_b32_e32 v111, v113
	;; [unrolled: 1-line block ×3, first 2 shown]
	v_pk_add_f32 v[110:111], v[110:111], v[142:143]
	v_pk_add_f32 v[142:143], v[46:47], v[60:61] neg_lo:[0,1] neg_hi:[0,1]
	v_pk_add_f32 v[58:59], v[78:79], v[58:59]
	v_mov_b32_e32 v101, v99
	v_mov_b32_e32 v90, v112
	v_pk_add_f32 v[138:139], v[46:47], v[60:61]
	v_pk_mul_f32 v[46:47], v[142:143], s[28:29] op_sel:[1,0] op_sel_hi:[0,0]
	v_pk_add_f32 v[58:59], v[100:101], v[58:59]
	v_mov_b32_e32 v105, v121
	v_mov_b32_e32 v57, v51
	v_pk_add_f32 v[80:81], v[90:91], v[80:81]
	v_mov_b32_e32 v90, v132
	v_mov_b32_e32 v91, v131
	v_mov_b32_e32 v131, v133
	v_pk_mul_f32 v[132:133], v[86:87], s[40:41] op_sel:[1,0] op_sel_hi:[0,0]
	v_pk_add_f32 v[58:59], v[104:105], v[58:59]
	v_mov_b32_e32 v107, v119
	v_pk_fma_f32 v[60:61], v[138:139], s[24:25], v[46:47] op_sel_hi:[1,0,1] neg_lo:[0,0,1] neg_hi:[0,0,1]
	v_pk_fma_f32 v[62:63], v[138:139], s[24:25], v[46:47] op_sel_hi:[1,0,1]
	v_pk_add_f32 v[50:51], v[48:49], v[56:57]
	v_mov_b32_e32 v67, v65
	v_pk_add_f32 v[110:111], v[130:131], v[110:111]
	v_pk_add_f32 v[80:81], v[90:91], v[80:81]
	v_pk_fma_f32 v[90:91], v[114:115], s[24:25], v[132:133] op_sel_hi:[1,0,1] neg_lo:[0,0,1] neg_hi:[0,0,1]
	v_pk_fma_f32 v[130:131], v[114:115], s[24:25], v[132:133] op_sel_hi:[1,0,1]
	v_pk_add_f32 v[58:59], v[106:107], v[58:59]
	v_mov_b32_e32 v46, v60
	v_mov_b32_e32 v47, v63
	v_pk_add_f32 v[50:51], v[66:67], v[50:51]
	v_mov_b32_e32 v85, v83
	v_mov_b32_e32 v133, v131
	;; [unrolled: 1-line block ×3, first 2 shown]
	v_pk_add_f32 v[46:47], v[46:47], v[58:59]
	v_pk_mul_f32 v[58:59], v[142:143], s[30:31] op_sel:[1,0] op_sel_hi:[0,0]
	v_pk_add_f32 v[50:51], v[84:85], v[50:51]
	v_mov_b32_e32 v123, v125
	v_mov_b32_e32 v132, v90
	v_pk_add_f32 v[90:91], v[130:131], v[80:81]
	v_pk_mul_f32 v[80:81], v[114:115], s[10:11] op_sel_hi:[1,0]
	v_pk_add_f32 v[50:51], v[122:123], v[50:51]
	v_mov_b32_e32 v135, v137
	v_pk_fma_f32 v[56:57], v[138:139], s[10:11], v[58:59] op_sel_hi:[1,0,1] neg_lo:[0,0,1] neg_hi:[0,0,1]
	v_pk_fma_f32 v[58:59], v[138:139], s[10:11], v[58:59] op_sel_hi:[1,0,1]
	v_pk_fma_f32 v[130:131], v[86:87], s[30:31], v[80:81] op_sel:[1,0,0] op_sel_hi:[0,0,1] neg_lo:[1,0,0] neg_hi:[1,0,0]
	v_pk_fma_f32 v[80:81], v[86:87], s[30:31], v[80:81] op_sel:[1,0,0] op_sel_hi:[0,0,1]
	v_mov_b32_e32 v63, v61
	v_pk_add_f32 v[50:51], v[134:135], v[50:51]
	v_mov_b32_e32 v60, v56
	v_mov_b32_e32 v61, v59
	v_pk_mul_f32 v[54:55], v[54:55], s[22:23] op_sel_hi:[1,0]
	v_pk_add_f32 v[110:111], v[132:133], v[110:111]
	v_mov_b32_e32 v132, v130
	v_mov_b32_e32 v133, v81
	;; [unrolled: 1-line block ×3, first 2 shown]
	v_pk_add_f32 v[50:51], v[60:61], v[50:51]
	v_pk_fma_f32 v[60:61], v[52:53], s[18:19], v[54:55] op_sel:[0,0,1] op_sel_hi:[1,0,0] neg_lo:[0,0,1] neg_hi:[0,0,1]
	v_pk_fma_f32 v[52:53], v[52:53], s[18:19], v[54:55] op_sel:[0,0,1] op_sel_hi:[1,0,0]
	v_pk_add_f32 v[96:97], v[132:133], v[96:97]
	v_pk_mul_f32 v[132:133], v[86:87], s[20:21] op_sel:[1,0] op_sel_hi:[0,0]
	v_pk_add_f32 v[94:95], v[80:81], v[94:95]
	v_pk_mul_f32 v[80:81], v[114:115], s[14:15] op_sel_hi:[1,0]
	v_mov_b32_e32 v54, v60
	v_mov_b32_e32 v55, v53
	v_mov_b32_e32 v53, v61
	v_mov_b32_e32 v92, v144
	v_mov_b32_e32 v93, v141
	v_pk_fma_f32 v[130:131], v[114:115], s[0:1], v[132:133] op_sel_hi:[1,0,1]
	v_pk_fma_f32 v[132:133], v[114:115], s[0:1], v[132:133] op_sel_hi:[1,0,1] neg_lo:[0,0,1] neg_hi:[0,0,1]
	v_pk_fma_f32 v[114:115], v[86:87], s[16:17], v[80:81] op_sel:[1,0,0] op_sel_hi:[0,0,1] neg_lo:[1,0,0] neg_hi:[1,0,0]
	v_pk_fma_f32 v[80:81], v[86:87], s[16:17], v[80:81] op_sel:[1,0,0] op_sel_hi:[0,0,1]
	v_pk_add_f32 v[54:55], v[48:49], v[54:55]
	v_pk_add_f32 v[48:49], v[48:49], v[52:53]
	v_mov_b32_e32 v112, v68
	v_mov_b32_e32 v113, v75
	;; [unrolled: 1-line block ×6, first 2 shown]
	v_pk_add_f32 v[48:49], v[92:93], v[48:49]
	v_pk_add_f32 v[86:87], v[86:87], v[116:117]
	v_mov_b32_e32 v116, v128
	v_mov_b32_e32 v117, v127
	v_pk_add_f32 v[56:57], v[58:59], v[108:109]
	v_pk_mul_f32 v[58:59], v[142:143], s[36:37] op_sel:[1,0] op_sel_hi:[0,0]
	v_pk_add_f32 v[52:53], v[140:141], v[54:55]
	v_mov_b32_e32 v75, v69
	v_pk_add_f32 v[48:49], v[112:113], v[48:49]
	v_mov_b32_e32 v81, v115
	v_mov_b32_e32 v114, v130
	;; [unrolled: 1-line block ×3, first 2 shown]
	v_pk_add_f32 v[52:53], v[74:75], v[52:53]
	v_mov_b32_e32 v127, v129
	v_pk_add_f32 v[48:49], v[116:117], v[48:49]
	v_pk_fma_f32 v[54:55], v[138:139], s[26:27], v[58:59] op_sel_hi:[1,0,1] neg_lo:[0,0,1] neg_hi:[0,0,1]
	v_pk_fma_f32 v[58:59], v[138:139], s[26:27], v[58:59] op_sel_hi:[1,0,1]
	v_pk_add_f32 v[52:53], v[126:127], v[52:53]
	v_mov_b32_e32 v133, v131
	v_pk_add_f32 v[48:49], v[114:115], v[48:49]
	v_mov_b32_e32 v61, v59
	v_mov_b32_e32 v59, v55
	v_pk_add_f32 v[52:53], v[132:133], v[52:53]
	v_mov_b32_e32 v60, v54
	v_pk_add_f32 v[54:55], v[58:59], v[48:49]
	v_pk_mul_f32 v[48:49], v[138:139], s[0:1] op_sel_hi:[1,0]
	v_pk_add_f32 v[52:53], v[60:61], v[52:53]
	v_pk_fma_f32 v[60:61], v[142:143], s[38:39], v[48:49] op_sel:[1,0,0] op_sel_hi:[0,0,1] neg_lo:[1,0,0] neg_hi:[1,0,0]
	v_pk_fma_f32 v[48:49], v[142:143], s[38:39], v[48:49] op_sel:[1,0,0] op_sel_hi:[0,0,1]
	v_mov_b32_e32 v59, v49
	v_mov_b32_e32 v49, v61
	v_pk_add_f32 v[64:65], v[48:49], v[90:91]
	v_pk_mul_f32 v[48:49], v[138:139], s[14:15] op_sel_hi:[1,0]
	v_pk_add_f32 v[88:89], v[80:81], v[88:89]
	v_pk_add_f32 v[80:81], v[62:63], v[102:103]
	v_pk_fma_f32 v[62:63], v[142:143], s[16:17], v[48:49] op_sel:[1,0,0] op_sel_hi:[0,0,1] neg_lo:[1,0,0] neg_hi:[1,0,0]
	v_pk_fma_f32 v[48:49], v[142:143], s[16:17], v[48:49] op_sel:[1,0,0] op_sel_hi:[0,0,1]
	v_mov_b32_e32 v61, v49
	v_mov_b32_e32 v49, v63
	;; [unrolled: 1-line block ×4, first 2 shown]
	v_pk_add_f32 v[62:63], v[48:49], v[94:95]
	v_pk_mul_f32 v[48:49], v[142:143], s[34:35] op_sel:[1,0] op_sel_hi:[0,0]
	v_pk_fma_f32 v[68:69], v[138:139], s[18:19], v[48:49] op_sel_hi:[1,0,1] neg_lo:[0,0,1] neg_hi:[0,0,1]
	v_pk_fma_f32 v[48:49], v[138:139], s[18:19], v[48:49] op_sel_hi:[1,0,1]
	v_mov_b32_e32 v66, v68
	v_mov_b32_e32 v67, v49
	;; [unrolled: 1-line block ×3, first 2 shown]
	v_pk_add_f32 v[58:59], v[58:59], v[110:111]
	v_pk_add_f32 v[60:61], v[60:61], v[96:97]
	;; [unrolled: 1-line block ×4, first 2 shown]
	s_and_saveexec_b64 s[0:1], s[2:3]
	s_cbranch_execz .LBB0_11
; %bb.10:
	v_add_u32_e32 v48, 0x800, v70
	ds_write2_b64 v48, v[50:51], v[52:53] offset0:30 offset1:173
	v_add_u32_e32 v48, 0x1000, v70
	ds_write2_b64 v48, v[58:59], v[60:61] offset0:60 offset1:203
	;; [unrolled: 2-line block ×4, first 2 shown]
	v_add_u32_e32 v48, 0x2c00, v70
	ds_write2_b64 v70, v[44:45], v[46:47] offset1:143
	ds_write2_b64 v48, v[54:55], v[56:57] offset0:22 offset1:165
	ds_write_b64 v70, v[80:81] offset:13728
.LBB0_11:
	s_or_b64 exec, exec, s[0:1]
	s_waitcnt lgkmcnt(0)
	s_barrier
	s_and_saveexec_b64 s[0:1], s[2:3]
	s_cbranch_execz .LBB0_13
; %bb.12:
	v_mov_b32_e32 v71, 0
	v_lshl_add_u64 v[48:49], s[8:9], 0, v[70:71]
	v_add_co_u32_e32 v74, vcc, 0x3000, v48
	s_mov_b64 s[10:11], 0x3a18
	s_nop 0
	v_addc_co_u32_e32 v75, vcc, 0, v49, vcc
	global_load_dwordx2 v[74:75], v[74:75], off offset:2584
	v_lshl_add_u64 v[76:77], v[48:49], 0, s[10:11]
	s_movk_i32 s10, 0x4000
	global_load_dwordx2 v[78:79], v[76:77], off offset:1144
	global_load_dwordx2 v[98:99], v[76:77], off offset:2288
	global_load_dwordx2 v[100:101], v[76:77], off offset:3432
	v_add_co_u32_e32 v76, vcc, s10, v48
	s_movk_i32 s10, 0x5000
	s_nop 0
	v_addc_co_u32_e32 v77, vcc, 0, v49, vcc
	v_add_co_u32_e32 v82, vcc, s10, v48
	s_movk_i32 s10, 0x6000
	s_nop 0
	v_addc_co_u32_e32 v83, vcc, 0, v49, vcc
	global_load_dwordx2 v[102:103], v[76:77], off offset:3064
	global_load_dwordx2 v[104:105], v[82:83], off offset:112
	;; [unrolled: 1-line block ×5, first 2 shown]
	v_add_co_u32_e32 v48, vcc, s10, v48
	v_add_u32_e32 v71, 0x400, v70
	s_nop 0
	v_addc_co_u32_e32 v49, vcc, 0, v49, vcc
	global_load_dwordx2 v[112:113], v[48:49], off offset:592
	global_load_dwordx2 v[114:115], v[48:49], off offset:1736
	;; [unrolled: 1-line block ×4, first 2 shown]
	ds_read_b64 v[48:49], v70
	v_add_u32_e32 v120, 0xc00, v70
	v_add_u32_e32 v121, 0x1400, v70
	v_add_u32_e32 v122, 0x1c00, v70
	v_add_u32_e32 v123, 0x2800, v70
	s_waitcnt vmcnt(12) lgkmcnt(0)
	v_mul_f32_e32 v76, v49, v75
	v_mul_f32_e32 v77, v48, v75
	v_fma_f32 v76, v48, v74, -v76
	v_fmac_f32_e32 v77, v49, v74
	ds_write_b64 v70, v[76:77]
	ds_read2_b64 v[74:77], v71 offset0:15 offset1:158
	ds_read2_b64 v[82:85], v120 offset0:45 offset1:188
	;; [unrolled: 1-line block ×5, first 2 shown]
	s_waitcnt vmcnt(11) lgkmcnt(4)
	v_mul_f32_e32 v48, v75, v79
	v_mul_f32_e32 v49, v74, v79
	s_waitcnt vmcnt(10)
	v_mul_f32_e32 v124, v77, v99
	v_mul_f32_e32 v79, v76, v99
	s_waitcnt vmcnt(9) lgkmcnt(3)
	v_mul_f32_e32 v125, v83, v101
	v_mul_f32_e32 v99, v82, v101
	s_waitcnt vmcnt(8)
	v_mul_f32_e32 v126, v85, v103
	v_mul_f32_e32 v101, v84, v103
	;; [unrolled: 6-line block ×4, first 2 shown]
	v_fma_f32 v48, v74, v78, -v48
	v_fmac_f32_e32 v49, v75, v78
	v_fma_f32 v78, v76, v98, -v124
	v_fmac_f32_e32 v79, v77, v98
	v_fma_f32 v98, v82, v100, -v125
	v_fmac_f32_e32 v99, v83, v100
	v_fma_f32 v100, v84, v102, -v126
	v_fmac_f32_e32 v101, v85, v102
	v_fma_f32 v102, v86, v104, -v127
	v_fmac_f32_e32 v103, v87, v104
	v_fma_f32 v104, v88, v106, -v128
	v_fmac_f32_e32 v105, v89, v106
	v_fma_f32 v106, v90, v108, -v129
	v_fmac_f32_e32 v107, v91, v108
	v_fma_f32 v108, v92, v110, -v130
	v_fmac_f32_e32 v109, v93, v110
	ds_write2_b64 v71, v[48:49], v[78:79] offset0:15 offset1:158
	ds_write2_b64 v120, v[98:99], v[100:101] offset0:45 offset1:188
	;; [unrolled: 1-line block ×4, first 2 shown]
	v_add_u32_e32 v71, 0x3000, v70
	ds_read2_b64 v[74:77], v71 offset0:37 offset1:180
	s_waitcnt vmcnt(3) lgkmcnt(5)
	v_mul_f32_e32 v131, v95, v113
	v_mul_f32_e32 v111, v94, v113
	s_waitcnt vmcnt(2)
	v_mul_f32_e32 v113, v97, v115
	v_mul_f32_e32 v49, v96, v115
	v_fma_f32 v110, v94, v112, -v131
	v_fmac_f32_e32 v111, v95, v112
	v_fma_f32 v48, v96, v114, -v113
	v_fmac_f32_e32 v49, v97, v114
	ds_write2_b64 v123, v[110:111], v[48:49] offset0:7 offset1:150
	s_waitcnt vmcnt(1) lgkmcnt(1)
	v_mul_f32_e32 v48, v75, v117
	v_mul_f32_e32 v49, v74, v117
	v_fma_f32 v48, v74, v116, -v48
	v_fmac_f32_e32 v49, v75, v116
	s_waitcnt vmcnt(0)
	v_mul_f32_e32 v74, v77, v119
	v_mul_f32_e32 v75, v76, v119
	v_fma_f32 v74, v76, v118, -v74
	v_fmac_f32_e32 v75, v77, v118
	ds_write2_b64 v71, v[48:49], v[74:75] offset0:37 offset1:180
.LBB0_13:
	s_or_b64 exec, exec, s[0:1]
	s_waitcnt lgkmcnt(0)
	s_barrier
	s_and_saveexec_b64 s[0:1], s[2:3]
	s_cbranch_execz .LBB0_15
; %bb.14:
	v_add_u32_e32 v48, 0x800, v70
	ds_read2_b64 v[50:53], v48 offset0:30 offset1:173
	v_add_u32_e32 v48, 0x1000, v70
	ds_read2_b64 v[58:61], v48 offset0:60 offset1:203
	;; [unrolled: 2-line block ×4, first 2 shown]
	v_add_u32_e32 v48, 0x2c00, v70
	ds_read2_b64 v[44:47], v70 offset1:143
	ds_read2_b64 v[54:57], v48 offset0:22 offset1:165
	ds_read_b64 v[80:81], v70 offset:13728
.LBB0_15:
	s_or_b64 exec, exec, s[0:1]
	s_waitcnt lgkmcnt(0)
	v_pk_add_f32 v[48:49], v[46:47], v[80:81] neg_lo:[0,1] neg_hi:[0,1]
	v_pk_add_f32 v[104:105], v[46:47], v[80:81]
	v_mov_b32_e32 v83, v48
	v_mov_b32_e32 v82, v104
	v_mov_b32_e32 v104, v49
	v_pk_add_f32 v[48:49], v[50:51], v[56:57] neg_lo:[0,1] neg_hi:[0,1]
	v_pk_add_f32 v[102:103], v[50:51], v[56:57]
	v_mov_b32_e32 v85, v48
	v_mov_b32_e32 v84, v102
	v_mov_b32_e32 v102, v49
	;; [unrolled: 5-line block ×4, first 2 shown]
	v_pk_add_f32 v[48:49], v[60:61], v[62:63] neg_lo:[0,1] neg_hi:[0,1]
	v_pk_add_f32 v[96:97], v[60:61], v[62:63]
	s_mov_b32 s25, 0x3f62ad3f
	s_mov_b32 s24, 0xbeedf032
	;; [unrolled: 1-line block ×3, first 2 shown]
	v_mov_b32_e32 v90, v96
	v_mov_b32_e32 v91, v48
	;; [unrolled: 1-line block ×3, first 2 shown]
	v_pk_add_f32 v[48:49], v[66:67], v[68:69] neg_lo:[0,1] neg_hi:[0,1]
	v_pk_add_f32 v[94:95], v[66:67], v[68:69]
	v_pk_mul_f32 v[106:107], v[104:105], s[24:25]
	s_mov_b32 s44, s25
	s_mov_b32 s45, s24
	;; [unrolled: 1-line block ×3, first 2 shown]
	v_mov_b32_e32 v92, v94
	v_mov_b32_e32 v93, v48
	;; [unrolled: 1-line block ×3, first 2 shown]
	v_pk_fma_f32 v[48:49], v[82:83], s[44:45], v[106:107] neg_lo:[0,0,1] neg_hi:[0,0,1]
	v_pk_fma_f32 v[108:109], v[82:83], s[44:45], v[106:107]
	v_pk_mul_f32 v[110:111], v[102:103], s[36:37]
	s_mov_b32 s0, s37
	s_mov_b32 s1, s36
	s_mov_b32 s42, 0xbf7e222b
	v_mov_b32_e32 v49, v109
	v_pk_fma_f32 v[74:75], v[84:85], s[0:1], v[110:111] neg_lo:[0,0,1] neg_hi:[0,0,1]
	v_pk_fma_f32 v[112:113], v[84:85], s[0:1], v[110:111]
	s_mov_b32 s43, 0x3df6dbef
	v_pk_add_f32 v[48:49], v[44:45], v[48:49]
	v_mov_b32_e32 v75, v113
	v_pk_mul_f32 v[114:115], v[100:101], s[42:43]
	s_mov_b32 s10, s43
	s_mov_b32 s11, s42
	s_mov_b32 s28, 0xbf6f5d39
	v_pk_add_f32 v[48:49], v[74:75], v[48:49]
	v_pk_fma_f32 v[74:75], v[86:87], s[10:11], v[114:115] neg_lo:[0,0,1] neg_hi:[0,0,1]
	v_pk_fma_f32 v[116:117], v[86:87], s[10:11], v[114:115]
	s_mov_b32 s29, 0xbeb58ec6
	v_mov_b32_e32 v75, v117
	v_pk_mul_f32 v[118:119], v[98:99], s[28:29]
	s_mov_b32 s18, s29
	s_mov_b32 s19, s28
	s_mov_b32 s34, 0xbf29c268
	v_pk_add_f32 v[48:49], v[74:75], v[48:49]
	v_pk_fma_f32 v[74:75], v[88:89], s[18:19], v[118:119] neg_lo:[0,0,1] neg_hi:[0,0,1]
	v_pk_fma_f32 v[120:121], v[88:89], s[18:19], v[118:119]
	s_mov_b32 s35, 0xbf3f9e67
	;; [unrolled: 9-line block ×3, first 2 shown]
	v_mov_b32_e32 v75, v125
	v_pk_mul_f32 v[134:135], v[94:95], s[38:39]
	s_mov_b32 s16, s39
	s_mov_b32 s17, s38
	v_pk_add_f32 v[48:49], v[74:75], v[48:49]
	v_pk_fma_f32 v[74:75], v[92:93], s[16:17], v[134:135] neg_lo:[0,0,1] neg_hi:[0,0,1]
	v_pk_fma_f32 v[140:141], v[92:93], s[16:17], v[134:135]
	v_pk_mul_f32 v[128:129], v[104:105], s[36:37]
	v_mov_b32_e32 v75, v141
	v_pk_add_f32 v[74:75], v[74:75], v[48:49]
	v_pk_fma_f32 v[48:49], v[82:83], s[0:1], v[128:129] neg_lo:[0,0,1] neg_hi:[0,0,1]
	v_pk_fma_f32 v[126:127], v[82:83], s[0:1], v[128:129]
	v_pk_mul_f32 v[132:133], v[102:103], s[28:29]
	v_mov_b32_e32 v49, v127
	v_pk_fma_f32 v[136:137], v[84:85], s[18:19], v[132:133] neg_lo:[0,0,1] neg_hi:[0,0,1]
	v_pk_fma_f32 v[130:131], v[84:85], s[18:19], v[132:133]
	v_pk_add_f32 v[48:49], v[44:45], v[48:49]
	v_mov_b32_e32 v137, v131
	v_pk_mul_f32 v[138:139], v[100:101], s[38:39]
	v_pk_add_f32 v[48:49], v[136:137], v[48:49]
	v_pk_fma_f32 v[142:143], v[86:87], s[16:17], v[138:139] neg_lo:[0,0,1] neg_hi:[0,0,1]
	v_pk_fma_f32 v[136:137], v[86:87], s[16:17], v[138:139]
	s_mov_b32 s46, 0x3f29c268
	v_mov_b32_e32 v143, v137
	s_mov_b32 s47, s35
	v_pk_add_f32 v[48:49], v[142:143], v[48:49]
	v_pk_mul_f32 v[142:143], v[98:99], s[46:47]
	s_mov_b32 s26, s35
	s_mov_b32 s27, s46
	v_pk_fma_f32 v[146:147], v[88:89], s[26:27], v[142:143] neg_lo:[0,0,1] neg_hi:[0,0,1]
	v_pk_fma_f32 v[144:145], v[88:89], s[26:27], v[142:143]
	s_mov_b32 s40, 0x3f7e222b
	v_mov_b32_e32 v147, v145
	s_mov_b32 s41, s43
	v_pk_add_f32 v[48:49], v[146:147], v[48:49]
	v_pk_mul_f32 v[146:147], v[96:97], s[40:41]
	s_mov_b32 s30, s43
	s_mov_b32 s31, s40
	v_pk_fma_f32 v[150:151], v[90:91], s[30:31], v[146:147] neg_lo:[0,0,1] neg_hi:[0,0,1]
	v_pk_fma_f32 v[148:149], v[90:91], s[30:31], v[146:147]
	s_mov_b32 s24, 0x3eedf032
	v_mov_b32_e32 v151, v149
	v_pk_add_f32 v[48:49], v[150:151], v[48:49]
	v_pk_mul_f32 v[150:151], v[94:95], s[24:25]
	s_mov_b32 s22, s25
	s_mov_b32 s23, s24
	v_pk_fma_f32 v[156:157], v[92:93], s[22:23], v[150:151] neg_lo:[0,0,1] neg_hi:[0,0,1]
	v_pk_fma_f32 v[152:153], v[92:93], s[22:23], v[150:151]
	v_mov_b32_e32 v78, v4
	v_mov_b32_e32 v157, v153
	;; [unrolled: 1-line block ×7, first 2 shown]
	v_pk_add_f32 v[48:49], v[156:157], v[48:49]
	s_barrier
	s_and_saveexec_b64 s[20:21], s[2:3]
	s_cbranch_execz .LBB0_17
; %bb.16:
	v_pk_add_f32 v[46:47], v[46:47], v[44:45]
	v_pk_mul_f32 v[156:157], v[82:83], s[44:45]
	v_pk_add_f32 v[46:47], v[50:51], v[46:47]
	v_pk_mul_f32 v[158:159], v[84:85], s[0:1]
	v_pk_add_f32 v[46:47], v[52:53], v[46:47]
	v_pk_add_f32 v[50:51], v[106:107], v[156:157] neg_lo:[0,1] neg_hi:[0,1]
	v_pk_add_f32 v[46:47], v[58:59], v[46:47]
	v_pk_mul_f32 v[160:161], v[86:87], s[10:11]
	v_pk_add_f32 v[46:47], v[60:61], v[46:47]
	v_mov_b32_e32 v109, v51
	v_pk_add_f32 v[46:47], v[66:67], v[46:47]
	v_pk_add_f32 v[52:53], v[110:111], v[158:159] neg_lo:[0,1] neg_hi:[0,1]
	v_pk_mul_f32 v[162:163], v[88:89], s[18:19]
	v_pk_add_f32 v[46:47], v[68:69], v[46:47]
	v_pk_add_f32 v[50:51], v[44:45], v[108:109]
	v_mov_b32_e32 v113, v53
	v_pk_add_f32 v[52:53], v[114:115], v[160:161] neg_lo:[0,1] neg_hi:[0,1]
	v_pk_mul_f32 v[164:165], v[90:91], s[14:15]
	v_pk_add_f32 v[46:47], v[62:63], v[46:47]
	v_pk_add_f32 v[50:51], v[112:113], v[50:51]
	v_mov_b32_e32 v117, v53
	;; [unrolled: 5-line block ×3, first 2 shown]
	v_pk_add_f32 v[52:53], v[122:123], v[164:165] neg_lo:[0,1] neg_hi:[0,1]
	v_pk_add_f32 v[46:47], v[54:55], v[46:47]
	v_pk_add_f32 v[50:51], v[120:121], v[50:51]
	v_mov_b32_e32 v125, v53
	v_pk_add_f32 v[52:53], v[134:135], v[166:167] neg_lo:[0,1] neg_hi:[0,1]
	v_pk_add_f32 v[46:47], v[56:57], v[46:47]
	v_pk_add_f32 v[50:51], v[124:125], v[50:51]
	v_mov_b32_e32 v141, v53
	v_pk_mul_f32 v[168:169], v[82:83], s[0:1]
	v_lshlrev_b32_e32 v71, 3, v154
	v_pk_add_f32 v[46:47], v[80:81], v[46:47]
	v_pk_add_f32 v[50:51], v[140:141], v[50:51]
	v_pk_mul_f32 v[170:171], v[84:85], s[18:19]
	ds_write2_b64 v71, v[46:47], v[50:51] offset1:1
	v_pk_add_f32 v[46:47], v[128:129], v[168:169] neg_lo:[0,1] neg_hi:[0,1]
	v_pk_mul_f32 v[172:173], v[86:87], s[16:17]
	v_mov_b32_e32 v127, v47
	v_pk_add_f32 v[50:51], v[132:133], v[170:171] neg_lo:[0,1] neg_hi:[0,1]
	v_pk_mul_f32 v[174:175], v[88:89], s[26:27]
	v_pk_add_f32 v[46:47], v[44:45], v[126:127]
	v_mov_b32_e32 v131, v51
	v_pk_add_f32 v[50:51], v[138:139], v[172:173] neg_lo:[0,1] neg_hi:[0,1]
	v_pk_mul_f32 v[176:177], v[90:91], s[30:31]
	v_pk_add_f32 v[46:47], v[130:131], v[46:47]
	;; [unrolled: 4-line block ×3, first 2 shown]
	v_mov_b32_e32 v145, v51
	v_pk_add_f32 v[50:51], v[146:147], v[176:177] neg_lo:[0,1] neg_hi:[0,1]
	v_pk_add_f32 v[46:47], v[144:145], v[46:47]
	v_mov_b32_e32 v149, v51
	v_pk_add_f32 v[50:51], v[150:151], v[178:179] neg_lo:[0,1] neg_hi:[0,1]
	v_pk_add_f32 v[46:47], v[148:149], v[46:47]
	v_mov_b32_e32 v153, v51
	v_pk_mul_f32 v[50:51], v[104:105], s[42:43]
	v_pk_add_f32 v[58:59], v[152:153], v[46:47]
	v_pk_fma_f32 v[46:47], v[82:83], s[10:11], v[50:51]
	v_pk_fma_f32 v[52:53], v[82:83], s[10:11], v[50:51] neg_lo:[1,0,0] neg_hi:[1,0,0]
	v_pk_mul_f32 v[54:55], v[102:103], s[38:39]
	v_mov_b32_e32 v52, v46
	s_mov_b32 s45, 0x3f6f5d39
	v_pk_add_f32 v[56:57], v[44:45], v[52:53]
	v_pk_fma_f32 v[52:53], v[84:85], s[16:17], v[54:55]
	v_pk_fma_f32 v[60:61], v[84:85], s[16:17], v[54:55] neg_lo:[1,0,0] neg_hi:[1,0,0]
	s_mov_b32 s48, s45
	s_mov_b32 s49, s29
	v_mov_b32_e32 v60, v52
	s_mov_b32 s44, s29
	v_pk_mul_f32 v[62:63], v[100:101], s[48:49]
	v_pk_add_f32 v[60:61], v[60:61], v[56:57]
	v_pk_fma_f32 v[56:57], v[86:87], s[44:45], v[62:63]
	v_pk_fma_f32 v[64:65], v[86:87], s[44:45], v[62:63] neg_lo:[1,0,0] neg_hi:[1,0,0]
	v_pk_mul_f32 v[112:113], v[102:103], s[46:47]
	v_mov_b32_e32 v64, v56
	v_pk_add_f32 v[60:61], v[64:65], v[60:61]
	v_pk_mul_f32 v[64:65], v[98:99], s[24:25]
	v_pk_fma_f32 v[114:115], v[84:85], s[26:27], v[112:113]
	v_pk_fma_f32 v[66:67], v[88:89], s[22:23], v[64:65]
	v_pk_fma_f32 v[68:69], v[88:89], s[22:23], v[64:65] neg_lo:[1,0,0] neg_hi:[1,0,0]
	v_pk_fma_f32 v[116:117], v[84:85], s[26:27], v[112:113] neg_lo:[1,0,0] neg_hi:[1,0,0]
	v_mov_b32_e32 v68, v66
	v_pk_add_f32 v[60:61], v[68:69], v[60:61]
	v_pk_mul_f32 v[68:69], v[96:97], s[36:37]
	v_mov_b32_e32 v116, v114
	v_pk_fma_f32 v[80:81], v[90:91], s[0:1], v[68:69]
	v_pk_fma_f32 v[106:107], v[90:91], s[0:1], v[68:69] neg_lo:[1,0,0] neg_hi:[1,0,0]
	s_mov_b32 s49, s39
	v_mov_b32_e32 v106, v80
	v_pk_add_f32 v[60:61], v[106:107], v[60:61]
	v_pk_mul_f32 v[106:107], v[94:95], s[34:35]
	s_mov_b32 s47, 0x3f52af12
	v_pk_fma_f32 v[108:109], v[92:93], s[14:15], v[106:107]
	v_pk_fma_f32 v[110:111], v[92:93], s[14:15], v[106:107] neg_lo:[1,0,0] neg_hi:[1,0,0]
	s_mov_b32 s50, s47
	v_mov_b32_e32 v110, v108
	v_pk_add_f32 v[60:61], v[110:111], v[60:61]
	ds_write2_b64 v71, v[58:59], v[60:61] offset0:2 offset1:3
	v_pk_mul_f32 v[58:59], v[104:105], s[28:29]
	s_mov_b32 s51, s37
	v_pk_fma_f32 v[60:61], v[82:83], s[18:19], v[58:59]
	v_pk_fma_f32 v[110:111], v[82:83], s[18:19], v[58:59] neg_lo:[1,0,0] neg_hi:[1,0,0]
	s_mov_b32 s46, s37
	v_mov_b32_e32 v110, v60
	v_pk_add_f32 v[110:111], v[44:45], v[110:111]
	v_pk_mul_f32 v[138:139], v[102:103], s[40:41]
	v_pk_add_f32 v[110:111], v[116:117], v[110:111]
	v_pk_mul_f32 v[116:117], v[100:101], s[24:25]
	v_pk_fma_f32 v[140:141], v[84:85], s[30:31], v[138:139]
	v_pk_fma_f32 v[118:119], v[86:87], s[22:23], v[116:117]
	v_pk_fma_f32 v[120:121], v[86:87], s[22:23], v[116:117] neg_lo:[1,0,0] neg_hi:[1,0,0]
	v_pk_fma_f32 v[142:143], v[84:85], s[30:31], v[138:139] neg_lo:[1,0,0] neg_hi:[1,0,0]
	v_mov_b32_e32 v120, v118
	v_pk_add_f32 v[110:111], v[120:121], v[110:111]
	v_pk_mul_f32 v[120:121], v[98:99], s[42:43]
	s_mov_b32 s43, 0x3e750f2a
	v_pk_fma_f32 v[122:123], v[88:89], s[10:11], v[120:121]
	v_pk_fma_f32 v[124:125], v[88:89], s[10:11], v[120:121] neg_lo:[1,0,0] neg_hi:[1,0,0]
	s_mov_b32 s48, s43
	v_mov_b32_e32 v124, v122
	v_pk_add_f32 v[110:111], v[124:125], v[110:111]
	s_mov_b32 s42, s39
	v_pk_mul_f32 v[124:125], v[96:97], s[48:49]
	v_mov_b32_e32 v142, v140
	v_pk_fma_f32 v[126:127], v[90:91], s[42:43], v[124:125]
	v_pk_fma_f32 v[128:129], v[90:91], s[42:43], v[124:125] neg_lo:[1,0,0] neg_hi:[1,0,0]
	v_pk_mul_f32 v[102:103], v[102:103], s[24:25]
	v_mov_b32_e32 v128, v126
	v_pk_add_f32 v[110:111], v[128:129], v[110:111]
	v_pk_mul_f32 v[128:129], v[94:95], s[50:51]
	v_pk_fma_f32 v[162:163], v[84:85], s[22:23], v[102:103] neg_lo:[1,0,0] neg_hi:[1,0,0]
	v_pk_fma_f32 v[130:131], v[92:93], s[46:47], v[128:129]
	v_pk_fma_f32 v[132:133], v[92:93], s[46:47], v[128:129] neg_lo:[1,0,0] neg_hi:[1,0,0]
	v_pk_fma_f32 v[58:59], v[82:83], s[18:19], v[58:59] neg_lo:[0,0,1] neg_hi:[0,0,1]
	v_mov_b32_e32 v132, v130
	v_pk_add_f32 v[110:111], v[132:133], v[110:111]
	v_pk_mul_f32 v[132:133], v[104:105], s[34:35]
	v_pk_mul_f32 v[104:105], v[104:105], s[38:39]
	v_pk_fma_f32 v[134:135], v[82:83], s[14:15], v[132:133]
	v_pk_fma_f32 v[136:137], v[82:83], s[14:15], v[132:133] neg_lo:[1,0,0] neg_hi:[1,0,0]
	v_pk_fma_f32 v[50:51], v[82:83], s[10:11], v[50:51] neg_lo:[0,0,1] neg_hi:[0,0,1]
	v_mov_b32_e32 v136, v134
	v_pk_add_f32 v[136:137], v[44:45], v[136:137]
	v_mov_b32_e32 v59, v61
	v_pk_add_f32 v[136:137], v[142:143], v[136:137]
	v_pk_mul_f32 v[142:143], v[100:101], s[36:37]
	v_pk_mul_f32 v[100:101], v[100:101], s[34:35]
	v_pk_fma_f32 v[144:145], v[86:87], s[0:1], v[142:143]
	v_pk_fma_f32 v[146:147], v[86:87], s[0:1], v[142:143] neg_lo:[1,0,0] neg_hi:[1,0,0]
	v_pk_fma_f32 v[164:165], v[86:87], s[14:15], v[100:101] neg_lo:[1,0,0] neg_hi:[1,0,0]
	v_mov_b32_e32 v146, v144
	v_pk_add_f32 v[136:137], v[146:147], v[136:137]
	v_pk_mul_f32 v[146:147], v[98:99], s[48:49]
	v_pk_mul_f32 v[98:99], v[98:99], s[50:51]
	v_pk_fma_f32 v[148:149], v[88:89], s[42:43], v[146:147]
	v_pk_fma_f32 v[150:151], v[88:89], s[42:43], v[146:147] neg_lo:[1,0,0] neg_hi:[1,0,0]
	v_pk_fma_f32 v[166:167], v[88:89], s[46:47], v[98:99] neg_lo:[1,0,0] neg_hi:[1,0,0]
	;; [unrolled: 7-line block ×4, first 2 shown]
	v_mov_b32_e32 v160, v158
	v_pk_add_f32 v[136:137], v[160:161], v[136:137]
	ds_write2_b64 v71, v[110:111], v[136:137] offset0:4 offset1:5
	v_pk_fma_f32 v[110:111], v[82:83], s[16:17], v[104:105]
	v_pk_fma_f32 v[136:137], v[82:83], s[16:17], v[104:105] neg_lo:[1,0,0] neg_hi:[1,0,0]
	v_pk_fma_f32 v[160:161], v[84:85], s[22:23], v[102:103]
	v_mov_b32_e32 v136, v110
	v_pk_add_f32 v[136:137], v[44:45], v[136:137]
	v_mov_b32_e32 v162, v160
	v_pk_add_f32 v[136:137], v[162:163], v[136:137]
	v_pk_fma_f32 v[162:163], v[86:87], s[14:15], v[100:101]
	v_pk_fma_f32 v[104:105], v[82:83], s[16:17], v[104:105] neg_lo:[0,0,1] neg_hi:[0,0,1]
	v_mov_b32_e32 v164, v162
	v_pk_add_f32 v[136:137], v[164:165], v[136:137]
	v_pk_fma_f32 v[164:165], v[88:89], s[46:47], v[98:99]
	v_mov_b32_e32 v105, v111
	v_pk_fma_f32 v[102:103], v[84:85], s[22:23], v[102:103] neg_lo:[0,0,1] neg_hi:[0,0,1]
	v_mov_b32_e32 v166, v164
	v_pk_add_f32 v[104:105], v[44:45], v[104:105]
	v_mov_b32_e32 v103, v161
	v_pk_fma_f32 v[100:101], v[86:87], s[14:15], v[100:101] neg_lo:[0,0,1] neg_hi:[0,0,1]
	v_pk_add_f32 v[136:137], v[166:167], v[136:137]
	v_pk_fma_f32 v[166:167], v[90:91], s[18:19], v[96:97]
	v_pk_add_f32 v[102:103], v[102:103], v[104:105]
	v_mov_b32_e32 v101, v163
	v_pk_fma_f32 v[98:99], v[88:89], s[46:47], v[98:99] neg_lo:[0,0,1] neg_hi:[0,0,1]
	v_mov_b32_e32 v168, v166
	v_pk_add_f32 v[100:101], v[100:101], v[102:103]
	v_mov_b32_e32 v99, v165
	v_pk_fma_f32 v[96:97], v[90:91], s[18:19], v[96:97] neg_lo:[0,0,1] neg_hi:[0,0,1]
	v_pk_add_f32 v[136:137], v[168:169], v[136:137]
	v_pk_fma_f32 v[168:169], v[92:93], s[30:31], v[94:95]
	v_pk_add_f32 v[98:99], v[98:99], v[100:101]
	v_mov_b32_e32 v97, v167
	v_pk_fma_f32 v[94:95], v[92:93], s[30:31], v[94:95] neg_lo:[0,0,1] neg_hi:[0,0,1]
	v_mov_b32_e32 v170, v168
	v_pk_add_f32 v[96:97], v[96:97], v[98:99]
	v_mov_b32_e32 v95, v169
	v_pk_add_f32 v[136:137], v[170:171], v[136:137]
	v_pk_add_f32 v[94:95], v[94:95], v[96:97]
	ds_write2_b64 v71, v[136:137], v[94:95] offset0:6 offset1:7
	v_pk_fma_f32 v[94:95], v[82:83], s[14:15], v[132:133] neg_lo:[0,0,1] neg_hi:[0,0,1]
	v_pk_fma_f32 v[96:97], v[84:85], s[30:31], v[138:139] neg_lo:[0,0,1] neg_hi:[0,0,1]
	v_mov_b32_e32 v95, v135
	v_pk_fma_f32 v[60:61], v[84:85], s[26:27], v[112:113] neg_lo:[0,0,1] neg_hi:[0,0,1]
	v_mov_b32_e32 v51, v47
	v_pk_fma_f32 v[46:47], v[84:85], s[16:17], v[54:55] neg_lo:[0,0,1] neg_hi:[0,0,1]
	v_pk_add_f32 v[94:95], v[44:45], v[94:95]
	v_mov_b32_e32 v97, v141
	v_pk_add_f32 v[58:59], v[44:45], v[58:59]
	v_mov_b32_e32 v61, v115
	;; [unrolled: 2-line block ×3, first 2 shown]
	v_pk_add_f32 v[94:95], v[96:97], v[94:95]
	v_pk_fma_f32 v[96:97], v[86:87], s[0:1], v[142:143] neg_lo:[0,0,1] neg_hi:[0,0,1]
	v_pk_add_f32 v[58:59], v[60:61], v[58:59]
	v_pk_fma_f32 v[60:61], v[86:87], s[22:23], v[116:117] neg_lo:[0,0,1] neg_hi:[0,0,1]
	v_pk_add_f32 v[44:45], v[46:47], v[44:45]
	v_pk_fma_f32 v[46:47], v[86:87], s[44:45], v[62:63] neg_lo:[0,0,1] neg_hi:[0,0,1]
	v_mov_b32_e32 v97, v145
	v_mov_b32_e32 v61, v119
	v_mov_b32_e32 v47, v57
	v_pk_add_f32 v[94:95], v[96:97], v[94:95]
	v_pk_fma_f32 v[96:97], v[88:89], s[42:43], v[146:147] neg_lo:[0,0,1] neg_hi:[0,0,1]
	v_pk_add_f32 v[58:59], v[60:61], v[58:59]
	v_pk_fma_f32 v[60:61], v[88:89], s[10:11], v[120:121] neg_lo:[0,0,1] neg_hi:[0,0,1]
	v_pk_add_f32 v[44:45], v[46:47], v[44:45]
	v_pk_fma_f32 v[46:47], v[88:89], s[22:23], v[64:65] neg_lo:[0,0,1] neg_hi:[0,0,1]
	v_mov_b32_e32 v97, v149
	v_mov_b32_e32 v61, v123
	v_mov_b32_e32 v47, v67
	;; [unrolled: 9-line block ×4, first 2 shown]
	v_pk_add_f32 v[94:95], v[96:97], v[94:95]
	v_pk_add_f32 v[58:59], v[60:61], v[58:59]
	;; [unrolled: 1-line block ×3, first 2 shown]
	ds_write2_b64 v71, v[94:95], v[58:59] offset0:8 offset1:9
	ds_write2_b64 v71, v[44:45], v[48:49] offset0:10 offset1:11
	ds_write_b64 v71, v[74:75] offset:96
.LBB0_17:
	s_or_b64 exec, exec, s[20:21]
	s_waitcnt lgkmcnt(0)
	s_barrier
	ds_read2_b64 v[44:47], v70 offset1:169
	v_add_u32_e32 v66, 0x800, v70
	ds_read2_b64 v[54:57], v66 offset0:82 offset1:251
	v_mov_b32_e32 v62, v17
	v_add_u32_e32 v50, 0x2800, v70
	s_waitcnt lgkmcnt(1)
	v_pk_mul_f32 v[58:59], v[16:17], v[46:47]
	v_mov_b32_e32 v60, v47
	v_pk_mul_f32 v[46:47], v[62:63], v[46:47]
	ds_read2_b64 v[50:53], v50 offset0:72 offset1:241
	v_pk_fma_f32 v[46:47], v[16:17], v[60:61], v[46:47] neg_lo:[0,0,1] neg_hi:[0,0,1]
	s_waitcnt lgkmcnt(1)
	v_pk_mul_f32 v[16:17], v[18:19], v[54:55]
	v_mov_b32_e32 v60, v58
	v_mov_b32_e32 v61, v16
	;; [unrolled: 1-line block ×3, first 2 shown]
	v_pk_add_f32 v[58:59], v[60:61], v[16:17]
	v_mov_b32_e32 v60, v19
	v_mov_b32_e32 v16, v55
	v_pk_mul_f32 v[54:55], v[60:61], v[54:55]
	s_waitcnt lgkmcnt(0)
	v_pk_mul_f32 v[4:5], v[4:5], v[52:53]
	v_pk_fma_f32 v[60:61], v[18:19], v[16:17], v[54:55] neg_lo:[0,0,1] neg_hi:[0,0,1]
	v_add_u32_e32 v16, 0x1400, v70
	ds_read2_b64 v[16:19], v16 offset0:36 offset1:205
	v_mov_b32_e32 v54, v13
	v_pk_mul_f32 v[54:55], v[54:55], v[56:57] op_sel:[0,1] op_sel_hi:[1,0]
	s_mov_b32 s0, 0xbf4178ce
	v_pk_fma_f32 v[62:63], v[12:13], v[56:57], v[54:55]
	v_mov_b32_e32 v54, v15
	s_waitcnt lgkmcnt(0)
	v_pk_mul_f32 v[54:55], v[54:55], v[16:17] op_sel:[0,1] op_sel_hi:[1,0]
	v_pk_mul_f32 v[12:13], v[12:13], v[56:57] op_sel:[0,1] op_sel_hi:[1,0]
	v_pk_fma_f32 v[68:69], v[14:15], v[16:17], v[54:55]
	v_pk_mul_f32 v[14:15], v[14:15], v[16:17] op_sel:[0,1] op_sel_hi:[1,0]
	v_mov_b32_e32 v16, v12
	v_mov_b32_e32 v17, v14
	;; [unrolled: 1-line block ×3, first 2 shown]
	v_add_u32_e32 v12, 0x1e00, v70
	v_pk_add_f32 v[16:17], v[16:17], v[14:15] neg_lo:[0,1] neg_hi:[0,1]
	ds_read2_b64 v[12:15], v12 offset0:54 offset1:223
	v_mov_b32_e32 v54, v9
	v_pk_mul_f32 v[54:55], v[54:55], v[18:19] op_sel:[0,1] op_sel_hi:[1,0]
	v_pk_fma_f32 v[56:57], v[78:79], v[52:53], v[4:5] op_sel:[0,0,1] op_sel_hi:[1,1,0]
	v_pk_fma_f32 v[80:81], v[8:9], v[18:19], v[54:55]
	v_pk_mul_f32 v[8:9], v[8:9], v[18:19] op_sel:[0,1] op_sel_hi:[1,0]
	v_mov_b32_e32 v18, v11
	s_waitcnt lgkmcnt(0)
	v_pk_mul_f32 v[18:19], v[18:19], v[12:13] op_sel:[0,1] op_sel_hi:[1,0]
	v_pk_fma_f32 v[4:5], v[78:79], v[52:53], v[4:5] op_sel:[0,0,1] op_sel_hi:[1,1,0] neg_lo:[0,0,1] neg_hi:[0,0,1]
	v_pk_fma_f32 v[82:83], v[10:11], v[12:13], v[18:19]
	v_pk_mul_f32 v[10:11], v[10:11], v[12:13] op_sel:[0,1] op_sel_hi:[1,0]
	v_mov_b32_e32 v12, v8
	v_mov_b32_e32 v13, v10
	;; [unrolled: 1-line block ×3, first 2 shown]
	v_pk_add_f32 v[8:9], v[12:13], v[10:11] neg_lo:[0,1] neg_hi:[0,1]
	v_mov_b32_e32 v10, v1
	v_pk_mul_f32 v[12:13], v[0:1], v[14:15] op_sel:[0,1] op_sel_hi:[1,0]
	v_pk_mul_f32 v[10:11], v[10:11], v[14:15] op_sel:[0,1] op_sel_hi:[1,0]
	v_mov_b32_e32 v12, v13
	v_pk_fma_f32 v[10:11], v[0:1], v[14:15], v[10:11]
	v_pk_fma_f32 v[14:15], v[0:1], v[14:15], v[12:13] op_sel:[0,1,0] op_sel_hi:[1,0,1] neg_lo:[0,0,1] neg_hi:[0,0,1]
	v_mov_b32_e32 v0, v3
	v_pk_mul_f32 v[0:1], v[0:1], v[50:51] op_sel:[0,1] op_sel_hi:[1,0]
	v_mov_b32_e32 v13, v46
	v_pk_fma_f32 v[64:65], v[2:3], v[50:51], v[0:1]
	v_pk_mul_f32 v[0:1], v[2:3], v[50:51] op_sel:[0,1] op_sel_hi:[1,0]
	v_mov_b32_e32 v78, v56
	v_mov_b32_e32 v0, v1
	v_pk_fma_f32 v[2:3], v[2:3], v[50:51], v[0:1] op_sel:[0,1,0] op_sel_hi:[1,0,1] neg_lo:[0,0,1] neg_hi:[0,0,1]
	ds_read_b64 v[0:1], v70 offset:13520
	v_mov_b32_e32 v79, v5
	s_mov_b32 s1, 0xbf27a4f4
	s_mov_b32 s16, 0x3f7d64f0
	v_mov_b32_e32 v84, v64
	s_waitcnt lgkmcnt(0)
	v_pk_mul_f32 v[6:7], v[6:7], v[0:1]
	v_mov_b32_e32 v85, v2
	v_pk_fma_f32 v[18:19], v[76:77], v[0:1], v[6:7] op_sel:[0,0,1] op_sel_hi:[1,1,0]
	v_pk_fma_f32 v[0:1], v[76:77], v[0:1], v[6:7] op_sel:[0,0,1] op_sel_hi:[1,1,0] neg_lo:[0,0,1] neg_hi:[0,0,1]
	v_mov_b32_e32 v6, v18
	v_pk_add_f32 v[12:13], v[12:13], v[0:1]
	v_mov_b32_e32 v0, v1
	v_pk_add_f32 v[54:55], v[46:47], v[0:1] neg_lo:[0,1] neg_hi:[0,1]
	v_mov_b32_e32 v0, v59
	v_mov_b32_e32 v7, v1
	v_pk_add_f32 v[52:53], v[0:1], v[56:57]
	v_mov_b32_e32 v1, v60
	v_pk_add_f32 v[50:51], v[58:59], v[18:19]
	v_pk_add_f32 v[86:87], v[58:59], v[18:19] neg_lo:[0,1] neg_hi:[0,1]
	v_pk_add_f32 v[18:19], v[0:1], v[4:5]
	v_mov_b32_e32 v4, v5
	v_mov_b32_e32 v1, v56
	v_pk_add_f32 v[56:57], v[60:61], v[4:5] neg_lo:[0,1] neg_hi:[0,1]
	v_pk_add_f32 v[4:5], v[44:45], v[58:59]
	v_mov_b32_e32 v12, v45
	v_pk_add_f32 v[88:89], v[58:59], v[0:1] neg_lo:[0,1] neg_hi:[0,1]
	v_pk_add_f32 v[46:47], v[12:13], v[46:47]
	v_pk_add_f32 v[0:1], v[4:5], v[0:1]
	;; [unrolled: 1-line block ×6, first 2 shown]
	v_mov_b32_e32 v12, v17
	v_pk_add_f32 v[4:5], v[4:5], v[12:13]
	v_pk_add_f32 v[0:1], v[0:1], v[80:81]
	;; [unrolled: 1-line block ×4, first 2 shown]
	v_mov_b32_e32 v76, v10
	v_mov_b32_e32 v1, v4
	v_pk_add_f32 v[4:5], v[0:1], v[8:9]
	v_mov_b32_e32 v77, v14
	v_mov_b32_e32 v1, v5
	v_pk_add_f32 v[0:1], v[0:1], v[76:77]
	v_mov_b32_e32 v51, v86
	s_mov_b32 s10, s1
	s_mov_b32 s11, s0
	;; [unrolled: 1-line block ×3, first 2 shown]
	v_pk_add_f32 v[0:1], v[0:1], v[84:85]
	v_mov_b32_e32 v12, v54
	v_pk_mul_f32 v[76:77], v[50:51], s[10:11]
	v_mov_b32_e32 v53, v89
	s_mov_b32 s30, s17
	s_mov_b32 s31, s16
	v_pk_add_f32 v[0:1], v[0:1], v[78:79]
	v_pk_fma_f32 v[4:5], v[54:55], s[0:1], v[76:77] neg_lo:[1,0,0] neg_hi:[1,0,0]
	v_pk_fma_f32 v[78:79], v[12:13], s[0:1], v[76:77]
	v_mov_b32_e32 v18, v56
	v_pk_mul_f32 v[84:85], v[52:53], s[30:31]
	v_pk_add_f32 v[0:1], v[0:1], v[6:7]
	v_mov_b32_e32 v5, v79
	v_pk_fma_f32 v[6:7], v[56:57], s[16:17], v[84:85] neg_lo:[1,0,0] neg_hi:[1,0,0]
	v_pk_fma_f32 v[86:87], v[18:19], s[16:17], v[84:85]
	v_pk_add_f32 v[4:5], v[44:45], v[4:5]
	v_mov_b32_e32 v7, v87
	s_mov_b32 s20, 0xbf0a6770
	v_pk_add_f32 v[4:5], v[6:7], v[4:5]
	v_pk_add_f32 v[60:61], v[62:63], v[64:65]
	v_pk_add_f32 v[6:7], v[62:63], v[64:65] neg_lo:[0,1] neg_hi:[0,1]
	s_mov_b32 s21, 0x3f575c64
	v_mov_b32_e32 v61, v6
	v_pk_add_f32 v[64:65], v[16:17], v[2:3] neg_lo:[0,1] neg_hi:[0,1]
	v_pk_add_f32 v[2:3], v[16:17], v[2:3]
	s_mov_b32 s28, s21
	s_mov_b32 s29, s20
	v_mov_b32_e32 v58, v64
	v_mov_b32_e32 v59, v2
	v_pk_mul_f32 v[88:89], v[60:61], s[28:29]
	s_mov_b32 s14, 0xbe903f40
	v_pk_fma_f32 v[2:3], v[64:65], s[20:21], v[88:89] neg_lo:[1,0,0] neg_hi:[1,0,0]
	v_pk_fma_f32 v[90:91], v[58:59], s[20:21], v[88:89]
	v_pk_add_f32 v[92:93], v[68:69], v[10:11]
	v_mov_b32_e32 v3, v91
	v_pk_add_f32 v[2:3], v[2:3], v[4:5]
	v_pk_add_f32 v[4:5], v[68:69], v[10:11] neg_lo:[0,1] neg_hi:[0,1]
	s_mov_b32 s15, 0xbf75a155
	v_mov_b32_e32 v93, v4
	v_pk_add_f32 v[68:69], v[16:17], v[14:15] op_sel:[1,0] neg_lo:[0,1] neg_hi:[0,1]
	v_pk_add_f32 v[62:63], v[16:17], v[14:15] op_sel_hi:[1,0]
	s_mov_b32 s24, s15
	s_mov_b32 s25, s14
	v_mov_b32_e32 v62, v68
	v_pk_mul_f32 v[14:15], v[92:93], s[24:25]
	v_pk_add_f32 v[96:97], v[80:81], v[82:83]
	v_pk_fma_f32 v[4:5], v[68:69], s[14:15], v[14:15] neg_lo:[1,0,0] neg_hi:[1,0,0]
	v_pk_fma_f32 v[16:17], v[62:63], s[14:15], v[14:15]
	s_mov_b32 s19, 0x3ed4b147
	v_mov_b32_e32 v5, v17
	v_pk_add_f32 v[94:95], v[4:5], v[2:3]
	v_pk_add_f32 v[2:3], v[80:81], v[82:83] neg_lo:[0,1] neg_hi:[0,1]
	v_pk_add_f32 v[80:81], v[8:9], v[8:9] op_sel:[0,1] neg_lo:[0,1] neg_hi:[0,1]
	v_mov_b32_e32 v97, v2
	v_pk_add_f32 v[2:3], v[8:9], v[8:9] op_sel_hi:[0,1]
	s_mov_b32 s18, 0xbf68dda4
	v_mov_b32_e32 v81, v3
	v_pk_mul_f32 v[2:3], v[50:51], s[28:29]
	s_mov_b32 s34, s19
	s_mov_b32 s35, s18
	v_pk_fma_f32 v[4:5], v[54:55], s[20:21], v[2:3] neg_lo:[1,0,0] neg_hi:[1,0,0]
	v_pk_fma_f32 v[6:7], v[12:13], s[20:21], v[2:3]
	v_pk_mul_f32 v[8:9], v[52:53], s[34:35]
	v_mov_b32_e32 v5, v7
	v_pk_fma_f32 v[10:11], v[56:57], s[18:19], v[8:9] neg_lo:[1,0,0] neg_hi:[1,0,0]
	v_pk_fma_f32 v[46:47], v[18:19], s[18:19], v[8:9]
	s_mov_b32 s26, 0xbf7d64f0
	v_mov_b32_e32 v11, v47
	v_pk_add_f32 v[4:5], v[44:45], v[4:5]
	s_mov_b32 s22, s17
	s_mov_b32 s23, s26
	v_pk_add_f32 v[4:5], v[10:11], v[4:5]
	s_mov_b32 s27, s17
	v_pk_mul_f32 v[10:11], v[60:61], s[22:23]
	v_pk_fma_f32 v[2:3], v[12:13], s[20:21], v[2:3] neg_lo:[0,0,1] neg_hi:[0,0,1]
	v_pk_fma_f32 v[82:83], v[64:65], s[26:27], v[10:11] neg_lo:[1,0,0] neg_hi:[1,0,0]
	v_pk_fma_f32 v[98:99], v[58:59], s[26:27], v[10:11]
	v_mov_b32_e32 v7, v3
	v_mov_b32_e32 v83, v99
	v_pk_add_f32 v[4:5], v[82:83], v[4:5]
	v_pk_mul_f32 v[82:83], v[92:93], s[10:11]
	v_pk_fma_f32 v[2:3], v[18:19], s[18:19], v[8:9] neg_lo:[0,0,1] neg_hi:[0,0,1]
	v_pk_fma_f32 v[100:101], v[68:69], s[0:1], v[82:83] neg_lo:[1,0,0] neg_hi:[1,0,0]
	v_pk_fma_f32 v[102:103], v[62:63], s[0:1], v[82:83]
	v_mov_b32_e32 v47, v3
	v_mov_b32_e32 v101, v103
	v_pk_add_f32 v[2:3], v[44:45], v[6:7]
	v_pk_fma_f32 v[6:7], v[58:59], s[26:27], v[10:11] neg_lo:[0,0,1] neg_hi:[0,0,1]
	v_pk_add_f32 v[4:5], v[100:101], v[4:5]
	v_pk_mul_f32 v[100:101], v[80:81], s[14:15]
	v_pk_add_f32 v[2:3], v[46:47], v[2:3]
	v_mov_b32_e32 v99, v7
	v_pk_fma_f32 v[6:7], v[62:63], s[0:1], v[82:83] neg_lo:[0,0,1] neg_hi:[0,0,1]
	v_pk_add_f32 v[2:3], v[98:99], v[2:3]
	v_mov_b32_e32 v103, v7
	v_pk_fma_f32 v[6:7], v[96:97], s[24:25], v[100:101]
	v_pk_fma_f32 v[8:9], v[96:97], s[24:25], v[100:101] neg_lo:[1,0,0] neg_hi:[1,0,0]
	v_pk_add_f32 v[2:3], v[102:103], v[2:3]
	v_mov_b32_e32 v8, v6
	v_pk_add_f32 v[2:3], v[8:9], v[2:3]
	v_pk_fma_f32 v[8:9], v[96:97], s[24:25], v[100:101] neg_lo:[0,0,1] neg_hi:[0,0,1]
	v_pk_mul_f32 v[10:11], v[52:53], s[10:11]
	v_mov_b32_e32 v9, v7
	v_pk_add_f32 v[46:47], v[8:9], v[4:5]
	v_pk_mul_f32 v[4:5], v[50:51], s[34:35]
	v_pk_fma_f32 v[82:83], v[56:57], s[0:1], v[10:11] neg_lo:[1,0,0] neg_hi:[1,0,0]
	v_pk_fma_f32 v[6:7], v[54:55], s[18:19], v[4:5] neg_lo:[1,0,0] neg_hi:[1,0,0]
	v_pk_fma_f32 v[8:9], v[12:13], s[18:19], v[4:5]
	v_pk_fma_f32 v[98:99], v[18:19], s[0:1], v[10:11]
	v_mov_b32_e32 v7, v9
	s_mov_b32 s36, 0x3e903f40
	v_mov_b32_e32 v83, v99
	v_pk_add_f32 v[6:7], v[44:45], v[6:7]
	s_mov_b32 s38, s15
	s_mov_b32 s39, s36
	v_pk_add_f32 v[6:7], v[82:83], v[6:7]
	s_mov_b32 s37, s15
	v_pk_mul_f32 v[82:83], v[60:61], s[38:39]
	v_pk_fma_f32 v[4:5], v[12:13], s[18:19], v[4:5] neg_lo:[0,0,1] neg_hi:[0,0,1]
	v_pk_fma_f32 v[100:101], v[64:65], s[36:37], v[82:83] neg_lo:[1,0,0] neg_hi:[1,0,0]
	v_pk_fma_f32 v[102:103], v[58:59], s[36:37], v[82:83]
	v_mov_b32_e32 v9, v5
	v_mov_b32_e32 v101, v103
	v_pk_add_f32 v[6:7], v[100:101], v[6:7]
	v_pk_mul_f32 v[100:101], v[92:93], s[30:31]
	v_pk_fma_f32 v[4:5], v[18:19], s[0:1], v[10:11] neg_lo:[0,0,1] neg_hi:[0,0,1]
	v_pk_fma_f32 v[104:105], v[68:69], s[16:17], v[100:101] neg_lo:[1,0,0] neg_hi:[1,0,0]
	v_pk_fma_f32 v[106:107], v[62:63], s[16:17], v[100:101]
	s_mov_b32 s30, 0x3f0a6770
	v_mov_b32_e32 v105, v107
	s_mov_b32 s31, s21
	v_mov_b32_e32 v99, v5
	v_pk_add_f32 v[4:5], v[44:45], v[8:9]
	v_pk_fma_f32 v[8:9], v[58:59], s[36:37], v[82:83] neg_lo:[0,0,1] neg_hi:[0,0,1]
	v_pk_add_f32 v[6:7], v[104:105], v[6:7]
	v_pk_mul_f32 v[104:105], v[80:81], s[30:31]
	s_mov_b32 s34, s21
	s_mov_b32 s35, s30
	v_pk_add_f32 v[4:5], v[98:99], v[4:5]
	v_mov_b32_e32 v103, v9
	v_pk_fma_f32 v[8:9], v[62:63], s[16:17], v[100:101] neg_lo:[0,0,1] neg_hi:[0,0,1]
	v_pk_add_f32 v[4:5], v[102:103], v[4:5]
	v_mov_b32_e32 v107, v9
	v_pk_fma_f32 v[8:9], v[96:97], s[34:35], v[104:105]
	v_pk_fma_f32 v[10:11], v[96:97], s[34:35], v[104:105] neg_lo:[1,0,0] neg_hi:[1,0,0]
	v_pk_add_f32 v[4:5], v[106:107], v[4:5]
	v_mov_b32_e32 v10, v8
	v_pk_add_f32 v[4:5], v[10:11], v[4:5]
	v_pk_fma_f32 v[10:11], v[96:97], s[34:35], v[104:105] neg_lo:[0,0,1] neg_hi:[0,0,1]
	v_pk_mul_f32 v[98:99], v[52:53], s[38:39]
	v_mov_b32_e32 v11, v9
	v_pk_add_f32 v[10:11], v[10:11], v[6:7]
	v_pk_mul_f32 v[6:7], v[50:51], s[22:23]
	v_pk_fma_f32 v[100:101], v[56:57], s[36:37], v[98:99] neg_lo:[1,0,0] neg_hi:[1,0,0]
	v_pk_fma_f32 v[8:9], v[54:55], s[26:27], v[6:7] neg_lo:[1,0,0] neg_hi:[1,0,0]
	v_pk_fma_f32 v[82:83], v[12:13], s[26:27], v[6:7]
	v_pk_fma_f32 v[102:103], v[18:19], s[36:37], v[98:99]
	v_mov_b32_e32 v9, v83
	s_mov_b32 s18, 0x3f68dda4
	v_mov_b32_e32 v101, v103
	v_pk_add_f32 v[8:9], v[44:45], v[8:9]
	s_mov_b32 s38, s19
	s_mov_b32 s39, s18
	v_pk_add_f32 v[8:9], v[100:101], v[8:9]
	v_pk_mul_f32 v[100:101], v[60:61], s[38:39]
	v_pk_fma_f32 v[6:7], v[12:13], s[26:27], v[6:7] neg_lo:[0,0,1] neg_hi:[0,0,1]
	v_pk_fma_f32 v[104:105], v[64:65], s[18:19], v[100:101] neg_lo:[1,0,0] neg_hi:[1,0,0]
	v_pk_fma_f32 v[106:107], v[58:59], s[18:19], v[100:101]
	v_mov_b32_e32 v83, v7
	v_mov_b32_e32 v105, v107
	v_pk_add_f32 v[8:9], v[104:105], v[8:9]
	v_pk_mul_f32 v[104:105], v[92:93], s[28:29]
	v_pk_fma_f32 v[6:7], v[18:19], s[36:37], v[98:99] neg_lo:[0,0,1] neg_hi:[0,0,1]
	v_pk_fma_f32 v[108:109], v[68:69], s[20:21], v[104:105] neg_lo:[1,0,0] neg_hi:[1,0,0]
	v_pk_fma_f32 v[110:111], v[62:63], s[20:21], v[104:105]
	v_mov_b32_e32 v103, v7
	v_mov_b32_e32 v109, v111
	v_pk_add_f32 v[6:7], v[44:45], v[82:83]
	v_pk_fma_f32 v[82:83], v[58:59], s[18:19], v[100:101] neg_lo:[0,0,1] neg_hi:[0,0,1]
	v_pk_fma_f32 v[76:77], v[12:13], s[0:1], v[76:77] neg_lo:[0,0,1] neg_hi:[0,0,1]
	v_pk_add_f32 v[8:9], v[108:109], v[8:9]
	v_pk_mul_f32 v[108:109], v[80:81], s[0:1]
	v_pk_add_f32 v[6:7], v[102:103], v[6:7]
	v_mov_b32_e32 v107, v83
	v_pk_fma_f32 v[82:83], v[62:63], s[20:21], v[104:105] neg_lo:[0,0,1] neg_hi:[0,0,1]
	v_mov_b32_e32 v79, v77
	v_pk_add_f32 v[6:7], v[106:107], v[6:7]
	v_mov_b32_e32 v111, v83
	v_pk_fma_f32 v[82:83], v[96:97], s[10:11], v[108:109]
	v_pk_fma_f32 v[98:99], v[96:97], s[10:11], v[108:109] neg_lo:[1,0,0] neg_hi:[1,0,0]
	v_pk_add_f32 v[76:77], v[44:45], v[78:79]
	v_pk_fma_f32 v[78:79], v[18:19], s[16:17], v[84:85] neg_lo:[0,0,1] neg_hi:[0,0,1]
	v_pk_add_f32 v[6:7], v[110:111], v[6:7]
	v_mov_b32_e32 v98, v82
	v_mov_b32_e32 v87, v79
	v_pk_fma_f32 v[78:79], v[58:59], s[20:21], v[88:89] neg_lo:[0,0,1] neg_hi:[0,0,1]
	v_pk_add_f32 v[6:7], v[98:99], v[6:7]
	v_pk_fma_f32 v[98:99], v[96:97], s[10:11], v[108:109] neg_lo:[0,0,1] neg_hi:[0,0,1]
	v_pk_add_f32 v[76:77], v[86:87], v[76:77]
	v_mov_b32_e32 v91, v79
	v_pk_fma_f32 v[14:15], v[62:63], s[14:15], v[14:15] neg_lo:[0,0,1] neg_hi:[0,0,1]
	v_mov_b32_e32 v99, v83
	v_pk_mul_f32 v[82:83], v[80:81], s[18:19]
	v_pk_add_f32 v[76:77], v[90:91], v[76:77]
	v_mov_b32_e32 v17, v15
	v_pk_add_f32 v[14:15], v[16:17], v[76:77]
	v_pk_fma_f32 v[76:77], v[96:97], s[38:39], v[82:83]
	v_pk_fma_f32 v[16:17], v[96:97], s[38:39], v[82:83] neg_lo:[1,0,0] neg_hi:[1,0,0]
	v_pk_mul_f32 v[50:51], v[50:51], s[24:25]
	v_mov_b32_e32 v16, v76
	v_pk_add_f32 v[16:17], v[16:17], v[14:15]
	v_pk_fma_f32 v[14:15], v[96:97], s[38:39], v[82:83] neg_lo:[0,0,1] neg_hi:[0,0,1]
	v_pk_fma_f32 v[54:55], v[54:55], s[14:15], v[50:51] neg_lo:[1,0,0] neg_hi:[1,0,0]
	v_mov_b32_e32 v15, v77
	v_pk_fma_f32 v[76:77], v[12:13], s[14:15], v[50:51]
	v_pk_mul_f32 v[52:53], v[52:53], s[34:35]
	v_mov_b32_e32 v55, v77
	v_pk_fma_f32 v[56:57], v[56:57], s[30:31], v[52:53] neg_lo:[1,0,0] neg_hi:[1,0,0]
	v_pk_fma_f32 v[78:79], v[18:19], s[30:31], v[52:53]
	v_pk_add_f32 v[54:55], v[44:45], v[54:55]
	v_mov_b32_e32 v57, v79
	v_pk_add_f32 v[54:55], v[56:57], v[54:55]
	v_pk_mul_f32 v[56:57], v[60:61], s[10:11]
	v_pk_fma_f32 v[12:13], v[12:13], s[14:15], v[50:51] neg_lo:[0,0,1] neg_hi:[0,0,1]
	v_pk_fma_f32 v[60:61], v[64:65], s[0:1], v[56:57] neg_lo:[1,0,0] neg_hi:[1,0,0]
	v_pk_fma_f32 v[64:65], v[58:59], s[0:1], v[56:57]
	v_mov_b32_e32 v77, v13
	v_mov_b32_e32 v61, v65
	v_pk_add_f32 v[54:55], v[60:61], v[54:55]
	v_pk_mul_f32 v[60:61], v[92:93], s[38:39]
	v_pk_fma_f32 v[12:13], v[18:19], s[30:31], v[52:53] neg_lo:[0,0,1] neg_hi:[0,0,1]
	v_pk_fma_f32 v[68:69], v[68:69], s[18:19], v[60:61] neg_lo:[1,0,0] neg_hi:[1,0,0]
	v_pk_fma_f32 v[82:83], v[62:63], s[18:19], v[60:61]
	v_mov_b32_e32 v79, v13
	v_mov_b32_e32 v69, v83
	v_pk_add_f32 v[12:13], v[44:45], v[76:77]
	v_pk_fma_f32 v[18:19], v[58:59], s[0:1], v[56:57] neg_lo:[0,0,1] neg_hi:[0,0,1]
	v_pk_add_f32 v[54:55], v[68:69], v[54:55]
	v_pk_mul_f32 v[68:69], v[80:81], s[26:27]
	v_pk_add_f32 v[12:13], v[78:79], v[12:13]
	v_mov_b32_e32 v65, v19
	v_pk_fma_f32 v[18:19], v[62:63], s[18:19], v[60:61] neg_lo:[0,0,1] neg_hi:[0,0,1]
	v_pk_add_f32 v[12:13], v[64:65], v[12:13]
	v_mov_b32_e32 v83, v19
	v_pk_fma_f32 v[44:45], v[96:97], s[22:23], v[68:69]
	v_pk_fma_f32 v[18:19], v[96:97], s[22:23], v[68:69] neg_lo:[1,0,0] neg_hi:[1,0,0]
	v_pk_add_f32 v[12:13], v[82:83], v[12:13]
	v_mov_b32_e32 v18, v44
	v_pk_add_f32 v[18:19], v[18:19], v[12:13]
	v_pk_fma_f32 v[12:13], v[96:97], s[22:23], v[68:69] neg_lo:[0,0,1] neg_hi:[0,0,1]
	v_pk_add_f32 v[8:9], v[98:99], v[8:9]
	v_mov_b32_e32 v13, v45
	v_pk_add_f32 v[14:15], v[14:15], v[94:95]
	v_pk_add_f32 v[12:13], v[12:13], v[54:55]
	s_barrier
	ds_write2_b64 v155, v[0:1], v[2:3] offset1:13
	ds_write2_b64 v155, v[4:5], v[6:7] offset0:26 offset1:39
	ds_write2_b64 v155, v[16:17], v[18:19] offset0:52 offset1:65
	;; [unrolled: 1-line block ×4, first 2 shown]
	ds_write_b64 v155, v[46:47] offset:1040
	s_waitcnt lgkmcnt(0)
	s_barrier
	s_and_saveexec_b64 s[0:1], s[2:3]
	s_cbranch_execz .LBB0_19
; %bb.18:
	v_add_u32_e32 v8, 0x1000, v70
	ds_read2_b64 v[0:3], v70 offset1:143
	ds_read2_b64 v[4:7], v66 offset0:30 offset1:173
	ds_read2_b64 v[16:19], v8 offset0:60 offset1:203
	v_add_u32_e32 v8, 0x1800, v70
	ds_read2_b64 v[12:15], v8 offset0:90 offset1:233
	v_add_u32_e32 v8, 0x2200, v70
	v_add_u32_e32 v44, 0x2c00, v70
	ds_read2_b64 v[8:11], v8 offset0:56 offset1:199
	ds_read2_b64 v[46:49], v44 offset0:22 offset1:165
	ds_read_b64 v[74:75], v70 offset:13728
.LBB0_19:
	s_or_b64 exec, exec, s[0:1]
	s_and_saveexec_b64 s[0:1], s[2:3]
	s_cbranch_execz .LBB0_21
; %bb.20:
	s_waitcnt lgkmcnt(0)
	v_pk_mul_f32 v[44:45], v[42:43], v[74:75] op_sel:[0,1]
	v_pk_mul_f32 v[52:53], v[40:41], v[48:49] op_sel:[0,1]
	;; [unrolled: 1-line block ×6, first 2 shown]
	v_pk_fma_f32 v[78:79], v[42:43], v[74:75], v[44:45] op_sel:[0,0,1] op_sel_hi:[1,1,0]
	v_pk_fma_f32 v[42:43], v[42:43], v[74:75], v[44:45] op_sel:[0,0,1] op_sel_hi:[1,0,0] neg_lo:[1,0,0] neg_hi:[1,0,0]
	v_pk_fma_f32 v[44:45], v[40:41], v[48:49], v[52:53] op_sel:[0,0,1] op_sel_hi:[1,1,0]
	v_pk_fma_f32 v[40:41], v[40:41], v[48:49], v[52:53] op_sel:[0,0,1] op_sel_hi:[1,0,0] neg_lo:[1,0,0] neg_hi:[1,0,0]
	;; [unrolled: 2-line block ×4, first 2 shown]
	v_pk_mul_f32 v[76:77], v[34:35], v[12:13] op_sel:[0,1]
	v_mov_b32_e32 v47, v11
	v_pk_fma_f32 v[36:37], v[32:33], v[18:19], v[66:67] op_sel:[0,0,1] op_sel_hi:[1,1,0]
	v_pk_fma_f32 v[10:11], v[32:33], v[18:19], v[66:67] op_sel:[0,0,1] op_sel_hi:[1,0,0] neg_lo:[1,0,0] neg_hi:[1,0,0]
	v_pk_fma_f32 v[32:33], v[30:31], v[8:9], v[64:65] op_sel:[0,0,1] op_sel_hi:[1,1,0]
	v_pk_fma_f32 v[8:9], v[30:31], v[8:9], v[64:65] op_sel:[0,0,1] op_sel_hi:[1,0,0] neg_lo:[1,0,0] neg_hi:[1,0,0]
	v_pk_mul_f32 v[68:69], v[28:29], v[14:15] op_sel:[0,1]
	v_mov_b32_e32 v33, v9
	v_pk_fma_f32 v[30:31], v[34:35], v[12:13], v[76:77] op_sel:[0,0,1] op_sel_hi:[1,1,0]
	v_pk_fma_f32 v[8:9], v[34:35], v[12:13], v[76:77] op_sel:[0,0,1] op_sel_hi:[1,0,0] neg_lo:[1,0,0] neg_hi:[1,0,0]
	v_pk_mul_f32 v[50:51], v[24:25], v[2:3] op_sel_hi:[1,0]
	v_mov_b32_e32 v31, v9
	v_pk_fma_f32 v[56:57], v[28:29], v[14:15], v[68:69] op_sel:[0,0,1] op_sel_hi:[1,1,0]
	v_pk_fma_f32 v[8:9], v[28:29], v[14:15], v[68:69] op_sel:[0,0,1] op_sel_hi:[1,0,0] neg_lo:[1,0,0] neg_hi:[1,0,0]
	v_pk_mul_f32 v[54:55], v[26:27], v[4:5] op_sel:[0,1]
	v_mov_b32_e32 v57, v9
	v_pk_fma_f32 v[8:9], v[24:25], v[2:3], v[50:51] op_sel:[1,1,0] op_sel_hi:[0,1,1]
	v_pk_fma_f32 v[2:3], v[24:25], v[2:3], v[50:51] op_sel:[1,1,0] op_sel_hi:[0,1,1] neg_lo:[0,0,1] neg_hi:[0,0,1]
	v_mov_b32_e32 v79, v43
	v_mov_b32_e32 v9, v3
	v_pk_mul_f32 v[58:59], v[20:21], v[6:7] op_sel:[0,1]
	v_pk_fma_f32 v[28:29], v[26:27], v[4:5], v[54:55] op_sel:[0,0,1] op_sel_hi:[1,1,0]
	v_pk_fma_f32 v[2:3], v[26:27], v[4:5], v[54:55] op_sel:[0,0,1] op_sel_hi:[1,0,0] neg_lo:[1,0,0] neg_hi:[1,0,0]
	v_pk_add_f32 v[60:61], v[8:9], v[78:79] neg_lo:[0,1] neg_hi:[0,1]
	s_mov_b32 s10, 0xbeedf032
	v_mov_b32_e32 v45, v41
	v_mov_b32_e32 v29, v3
	v_pk_fma_f32 v[26:27], v[20:21], v[6:7], v[58:59] op_sel:[0,0,1] op_sel_hi:[1,1,0]
	v_pk_fma_f32 v[2:3], v[20:21], v[6:7], v[58:59] op_sel:[0,0,1] op_sel_hi:[1,0,0] neg_lo:[1,0,0] neg_hi:[1,0,0]
	v_pk_add_f32 v[58:59], v[78:79], v[8:9]
	s_mov_b32 s16, 0x3f62ad3f
	v_pk_mul_f32 v[4:5], v[60:61], s[10:11] op_sel_hi:[1,0]
	v_pk_mul_f32 v[62:63], v[22:23], v[16:17] op_sel_hi:[1,0]
	v_mov_b32_e32 v27, v3
	v_pk_add_f32 v[64:65], v[28:29], v[44:45] neg_lo:[0,1] neg_hi:[0,1]
	v_pk_fma_f32 v[2:3], v[58:59], s[16:17], v[4:5] op_sel:[0,0,1] op_sel_hi:[1,0,0]
	v_pk_fma_f32 v[4:5], v[58:59], s[16:17], v[4:5] op_sel:[0,0,1] op_sel_hi:[1,0,0] neg_lo:[0,0,1] neg_hi:[0,0,1]
	s_mov_b32 s26, 0xbf52af12
	v_mov_b32_e32 v53, v39
	v_pk_fma_f32 v[38:39], v[22:23], v[16:17], v[62:63] op_sel:[1,1,0] op_sel_hi:[0,1,1]
	v_pk_fma_f32 v[16:17], v[22:23], v[16:17], v[62:63] op_sel:[1,1,0] op_sel_hi:[0,1,1] neg_lo:[0,0,1] neg_hi:[0,0,1]
	v_pk_add_f32 v[54:55], v[8:9], v[0:1]
	v_pk_add_f32 v[62:63], v[44:45], v[28:29]
	v_mov_b32_e32 v6, v2
	v_mov_b32_e32 v7, v5
	s_mov_b32 s14, 0x3f116cb1
	v_pk_mul_f32 v[8:9], v[64:65], s[26:27] op_sel_hi:[1,0]
	v_mov_b32_e32 v37, v11
	v_pk_add_f32 v[10:11], v[0:1], v[6:7]
	v_pk_fma_f32 v[6:7], v[62:63], s[14:15], v[8:9] op_sel:[0,0,1] op_sel_hi:[1,0,0]
	v_pk_fma_f32 v[8:9], v[62:63], s[14:15], v[8:9] op_sel:[0,0,1] op_sel_hi:[1,0,0] neg_lo:[0,0,1] neg_hi:[0,0,1]
	v_pk_add_f32 v[68:69], v[26:27], v[52:53] neg_lo:[0,1] neg_hi:[0,1]
	v_mov_b32_e32 v12, v6
	v_mov_b32_e32 v13, v9
	s_mov_b32 s36, 0xbf7e222b
	v_pk_add_f32 v[66:67], v[52:53], v[26:27]
	v_pk_add_f32 v[14:15], v[12:13], v[10:11]
	s_mov_b32 s10, 0x3df6dbef
	v_pk_mul_f32 v[12:13], v[68:69], s[36:37] op_sel_hi:[1,0]
	v_mov_b32_e32 v39, v17
	v_pk_fma_f32 v[10:11], v[66:67], s[10:11], v[12:13] op_sel:[0,0,1] op_sel_hi:[1,0,0]
	v_pk_fma_f32 v[12:13], v[66:67], s[10:11], v[12:13] op_sel:[0,0,1] op_sel_hi:[1,0,0] neg_lo:[0,0,1] neg_hi:[0,0,1]
	v_pk_add_f32 v[74:75], v[38:39], v[46:47] neg_lo:[0,1] neg_hi:[0,1]
	v_mov_b32_e32 v16, v10
	v_mov_b32_e32 v17, v13
	s_mov_b32 s20, 0xbf6f5d39
	v_pk_add_f32 v[28:29], v[28:29], v[54:55]
	v_pk_add_f32 v[50:51], v[46:47], v[38:39]
	v_pk_add_f32 v[18:19], v[16:17], v[14:15]
	s_mov_b32 s18, 0xbeb58ec6
	v_pk_mul_f32 v[16:17], v[74:75], s[20:21] op_sel_hi:[1,0]
	v_pk_add_f32 v[26:27], v[26:27], v[28:29]
	v_pk_fma_f32 v[14:15], v[50:51], s[18:19], v[16:17] op_sel:[0,0,1] op_sel_hi:[1,0,0]
	v_pk_fma_f32 v[16:17], v[50:51], s[18:19], v[16:17] op_sel:[0,0,1] op_sel_hi:[1,0,0] neg_lo:[0,0,1] neg_hi:[0,0,1]
	v_pk_add_f32 v[26:27], v[38:39], v[26:27]
	v_pk_add_f32 v[48:49], v[36:37], v[32:33] neg_lo:[0,1] neg_hi:[0,1]
	v_mov_b32_e32 v20, v14
	v_mov_b32_e32 v21, v17
	s_mov_b32 s24, 0xbf29c268
	v_pk_add_f32 v[26:27], v[36:37], v[26:27]
	v_pk_add_f32 v[42:43], v[32:33], v[36:37]
	v_pk_add_f32 v[22:23], v[20:21], v[18:19]
	s_mov_b32 s22, 0xbf3f9e67
	v_pk_mul_f32 v[20:21], v[48:49], s[24:25] op_sel_hi:[1,0]
	v_pk_add_f32 v[26:27], v[30:31], v[26:27]
	v_pk_fma_f32 v[18:19], v[42:43], s[22:23], v[20:21] op_sel:[0,0,1] op_sel_hi:[1,0,0]
	v_pk_fma_f32 v[20:21], v[42:43], s[22:23], v[20:21] op_sel:[0,0,1] op_sel_hi:[1,0,0] neg_lo:[0,0,1] neg_hi:[0,0,1]
	v_pk_add_f32 v[26:27], v[56:57], v[26:27]
	;; [unrolled: 13-line block ×3, first 2 shown]
	v_mov_b32_e32 v80, v22
	v_mov_b32_e32 v81, v25
	v_pk_add_f32 v[26:27], v[44:45], v[26:27]
	v_pk_add_f32 v[76:77], v[80:81], v[76:77]
	;; [unrolled: 1-line block ×3, first 2 shown]
	v_pk_mul_f32 v[28:29], v[60:61], s[26:27] op_sel_hi:[1,0]
	ds_write2_b64 v70, v[26:27], v[76:77] offset1:143
	v_pk_fma_f32 v[26:27], v[58:59], s[14:15], v[28:29] op_sel:[0,0,1] op_sel_hi:[1,0,0]
	v_pk_fma_f32 v[28:29], v[58:59], s[14:15], v[28:29] op_sel:[0,0,1] op_sel_hi:[1,0,0] neg_lo:[0,0,1] neg_hi:[0,0,1]
	v_mov_b32_e32 v30, v26
	v_mov_b32_e32 v31, v29
	v_pk_mul_f32 v[32:33], v[64:65], s[20:21] op_sel_hi:[1,0]
	v_pk_add_f32 v[36:37], v[0:1], v[30:31]
	v_pk_fma_f32 v[30:31], v[62:63], s[18:19], v[32:33] op_sel:[0,0,1] op_sel_hi:[1,0,0]
	v_pk_fma_f32 v[32:33], v[62:63], s[18:19], v[32:33] op_sel:[0,0,1] op_sel_hi:[1,0,0] neg_lo:[0,0,1] neg_hi:[0,0,1]
	v_mov_b32_e32 v38, v30
	v_mov_b32_e32 v39, v33
	v_pk_add_f32 v[44:45], v[38:39], v[36:37]
	v_pk_mul_f32 v[38:39], v[68:69], s[30:31] op_sel_hi:[1,0]
	s_mov_b32 s40, 0x3f29c268
	v_pk_fma_f32 v[36:37], v[66:67], s[28:29], v[38:39] op_sel:[0,0,1] op_sel_hi:[1,0,0]
	v_pk_fma_f32 v[38:39], v[66:67], s[28:29], v[38:39] op_sel:[0,0,1] op_sel_hi:[1,0,0] neg_lo:[0,0,1] neg_hi:[0,0,1]
	v_mov_b32_e32 v46, v36
	v_mov_b32_e32 v47, v39
	v_pk_add_f32 v[52:53], v[46:47], v[44:45]
	v_pk_mul_f32 v[46:47], v[74:75], s[40:41] op_sel_hi:[1,0]
	s_mov_b32 s34, 0x3f7e222b
	;; [unrolled: 7-line block ×3, first 2 shown]
	v_pk_fma_f32 v[56:57], v[42:43], s[10:11], v[54:55] op_sel:[0,0,1] op_sel_hi:[1,0,0]
	v_pk_fma_f32 v[54:55], v[42:43], s[10:11], v[54:55] op_sel:[0,0,1] op_sel_hi:[1,0,0] neg_lo:[0,0,1] neg_hi:[0,0,1]
	v_mov_b32_e32 v76, v56
	v_mov_b32_e32 v77, v55
	v_pk_add_f32 v[52:53], v[76:77], v[52:53]
	v_pk_mul_f32 v[76:77], v[40:41], s[38:39] op_sel_hi:[1,0]
	v_pk_mul_f32 v[86:87], v[64:65], s[30:31] op_sel_hi:[1,0]
	v_pk_fma_f32 v[78:79], v[34:35], s[16:17], v[76:77] op_sel:[0,0,1] op_sel_hi:[1,0,0]
	v_pk_fma_f32 v[76:77], v[34:35], s[16:17], v[76:77] op_sel:[0,0,1] op_sel_hi:[1,0,0] neg_lo:[0,0,1] neg_hi:[0,0,1]
	v_mov_b32_e32 v80, v78
	v_mov_b32_e32 v81, v77
	v_pk_add_f32 v[52:53], v[80:81], v[52:53]
	v_pk_mul_f32 v[80:81], v[60:61], s[36:37] op_sel_hi:[1,0]
	v_pk_fma_f32 v[88:89], v[62:63], s[28:29], v[86:87] op_sel:[0,0,1] op_sel_hi:[1,0,0]
	v_pk_fma_f32 v[82:83], v[58:59], s[10:11], v[80:81] op_sel:[0,0,1] op_sel_hi:[1,0,0]
	v_pk_fma_f32 v[80:81], v[58:59], s[10:11], v[80:81] op_sel:[0,0,1] op_sel_hi:[1,0,0] neg_lo:[0,0,1] neg_hi:[0,0,1]
	v_mov_b32_e32 v84, v82
	v_mov_b32_e32 v85, v81
	v_pk_fma_f32 v[86:87], v[62:63], s[28:29], v[86:87] op_sel:[0,0,1] op_sel_hi:[1,0,0] neg_lo:[0,0,1] neg_hi:[0,0,1]
	v_pk_add_f32 v[84:85], v[0:1], v[84:85]
	v_mov_b32_e32 v90, v88
	v_mov_b32_e32 v91, v87
	s_mov_b32 s42, 0x3f6f5d39
	v_pk_add_f32 v[84:85], v[90:91], v[84:85]
	v_pk_mul_f32 v[90:91], v[68:69], s[42:43] op_sel_hi:[1,0]
	v_add_u32_e32 v2, 0x800, v70
	v_pk_fma_f32 v[92:93], v[66:67], s[18:19], v[90:91] op_sel:[0,0,1] op_sel_hi:[1,0,0]
	v_pk_fma_f32 v[90:91], v[66:67], s[18:19], v[90:91] op_sel:[0,0,1] op_sel_hi:[1,0,0] neg_lo:[0,0,1] neg_hi:[0,0,1]
	v_mov_b32_e32 v94, v92
	v_mov_b32_e32 v95, v91
	v_pk_add_f32 v[84:85], v[94:95], v[84:85]
	v_pk_mul_f32 v[94:95], v[74:75], s[38:39] op_sel_hi:[1,0]
	v_pk_mul_f32 v[108:109], v[64:65], s[40:41] op_sel_hi:[1,0]
	v_pk_fma_f32 v[96:97], v[50:51], s[16:17], v[94:95] op_sel:[0,0,1] op_sel_hi:[1,0,0]
	v_pk_fma_f32 v[94:95], v[50:51], s[16:17], v[94:95] op_sel:[0,0,1] op_sel_hi:[1,0,0] neg_lo:[0,0,1] neg_hi:[0,0,1]
	v_mov_b32_e32 v98, v96
	v_mov_b32_e32 v99, v95
	v_pk_add_f32 v[84:85], v[98:99], v[84:85]
	v_pk_mul_f32 v[98:99], v[48:49], s[26:27] op_sel_hi:[1,0]
	v_pk_fma_f32 v[110:111], v[62:63], s[22:23], v[108:109] op_sel:[0,0,1] op_sel_hi:[1,0,0]
	v_pk_fma_f32 v[100:101], v[42:43], s[14:15], v[98:99] op_sel:[0,0,1] op_sel_hi:[1,0,0]
	v_pk_fma_f32 v[98:99], v[42:43], s[14:15], v[98:99] op_sel:[0,0,1] op_sel_hi:[1,0,0] neg_lo:[0,0,1] neg_hi:[0,0,1]
	v_mov_b32_e32 v102, v100
	v_mov_b32_e32 v103, v99
	v_pk_add_f32 v[84:85], v[102:103], v[84:85]
	v_pk_mul_f32 v[102:103], v[40:41], s[24:25] op_sel_hi:[1,0]
	v_pk_fma_f32 v[108:109], v[62:63], s[22:23], v[108:109] op_sel:[0,0,1] op_sel_hi:[1,0,0] neg_lo:[0,0,1] neg_hi:[0,0,1]
	v_pk_fma_f32 v[104:105], v[34:35], s[22:23], v[102:103] op_sel:[0,0,1] op_sel_hi:[1,0,0]
	v_pk_fma_f32 v[102:103], v[34:35], s[22:23], v[102:103] op_sel:[0,0,1] op_sel_hi:[1,0,0] neg_lo:[0,0,1] neg_hi:[0,0,1]
	v_mov_b32_e32 v106, v104
	v_mov_b32_e32 v107, v103
	v_pk_add_f32 v[84:85], v[106:107], v[84:85]
	ds_write2_b64 v2, v[52:53], v[84:85] offset0:30 offset1:173
	v_pk_mul_f32 v[52:53], v[60:61], s[20:21] op_sel_hi:[1,0]
	v_mov_b32_e32 v112, v110
	v_pk_fma_f32 v[84:85], v[58:59], s[18:19], v[52:53] op_sel:[0,0,1] op_sel_hi:[1,0,0]
	v_pk_fma_f32 v[52:53], v[58:59], s[18:19], v[52:53] op_sel:[0,0,1] op_sel_hi:[1,0,0] neg_lo:[0,0,1] neg_hi:[0,0,1]
	v_mov_b32_e32 v106, v84
	v_mov_b32_e32 v107, v53
	v_pk_add_f32 v[106:107], v[0:1], v[106:107]
	v_mov_b32_e32 v113, v109
	v_pk_add_f32 v[106:107], v[112:113], v[106:107]
	v_pk_mul_f32 v[112:113], v[68:69], s[38:39] op_sel_hi:[1,0]
	s_mov_b32 s40, 0x3f52af12
	v_pk_fma_f32 v[114:115], v[66:67], s[16:17], v[112:113] op_sel:[0,0,1] op_sel_hi:[1,0,0]
	v_pk_fma_f32 v[112:113], v[66:67], s[16:17], v[112:113] op_sel:[0,0,1] op_sel_hi:[1,0,0] neg_lo:[0,0,1] neg_hi:[0,0,1]
	v_mov_b32_e32 v116, v114
	v_mov_b32_e32 v117, v113
	v_pk_add_f32 v[106:107], v[116:117], v[106:107]
	v_pk_mul_f32 v[116:117], v[74:75], s[36:37] op_sel_hi:[1,0]
	s_mov_b32 s36, 0x3e750f2a
	v_pk_fma_f32 v[118:119], v[50:51], s[10:11], v[116:117] op_sel:[0,0,1] op_sel_hi:[1,0,0]
	v_pk_fma_f32 v[116:117], v[50:51], s[10:11], v[116:117] op_sel:[0,0,1] op_sel_hi:[1,0,0] neg_lo:[0,0,1] neg_hi:[0,0,1]
	v_mov_b32_e32 v120, v118
	v_mov_b32_e32 v121, v117
	v_pk_add_f32 v[106:107], v[120:121], v[106:107]
	v_pk_mul_f32 v[120:121], v[48:49], s[36:37] op_sel_hi:[1,0]
	v_pk_mul_f32 v[134:135], v[64:65], s[34:35] op_sel_hi:[1,0]
	v_pk_fma_f32 v[122:123], v[42:43], s[28:29], v[120:121] op_sel:[0,0,1] op_sel_hi:[1,0,0]
	v_pk_fma_f32 v[120:121], v[42:43], s[28:29], v[120:121] op_sel:[0,0,1] op_sel_hi:[1,0,0] neg_lo:[0,0,1] neg_hi:[0,0,1]
	v_mov_b32_e32 v124, v122
	v_mov_b32_e32 v125, v121
	v_pk_add_f32 v[106:107], v[124:125], v[106:107]
	v_pk_mul_f32 v[124:125], v[40:41], s[40:41] op_sel_hi:[1,0]
	v_pk_fma_f32 v[136:137], v[62:63], s[10:11], v[134:135] op_sel:[0,0,1] op_sel_hi:[1,0,0]
	v_pk_fma_f32 v[126:127], v[34:35], s[14:15], v[124:125] op_sel:[0,0,1] op_sel_hi:[1,0,0]
	v_pk_fma_f32 v[124:125], v[34:35], s[14:15], v[124:125] op_sel:[0,0,1] op_sel_hi:[1,0,0] neg_lo:[0,0,1] neg_hi:[0,0,1]
	v_mov_b32_e32 v128, v126
	v_mov_b32_e32 v129, v125
	v_pk_add_f32 v[106:107], v[128:129], v[106:107]
	v_pk_mul_f32 v[128:129], v[60:61], s[24:25] op_sel_hi:[1,0]
	v_pk_fma_f32 v[134:135], v[62:63], s[10:11], v[134:135] op_sel:[0,0,1] op_sel_hi:[1,0,0] neg_lo:[0,0,1] neg_hi:[0,0,1]
	v_pk_fma_f32 v[130:131], v[58:59], s[22:23], v[128:129] op_sel:[0,0,1] op_sel_hi:[1,0,0]
	v_pk_fma_f32 v[128:129], v[58:59], s[22:23], v[128:129] op_sel:[0,0,1] op_sel_hi:[1,0,0] neg_lo:[0,0,1] neg_hi:[0,0,1]
	v_mov_b32_e32 v132, v130
	v_mov_b32_e32 v133, v129
	v_pk_add_f32 v[132:133], v[0:1], v[132:133]
	v_mov_b32_e32 v138, v136
	v_mov_b32_e32 v139, v135
	v_pk_add_f32 v[132:133], v[138:139], v[132:133]
	v_pk_mul_f32 v[138:139], v[68:69], s[26:27] op_sel_hi:[1,0]
	v_add_u32_e32 v2, 0x1000, v70
	v_pk_fma_f32 v[140:141], v[66:67], s[14:15], v[138:139] op_sel:[0,0,1] op_sel_hi:[1,0,0]
	v_pk_fma_f32 v[138:139], v[66:67], s[14:15], v[138:139] op_sel:[0,0,1] op_sel_hi:[1,0,0] neg_lo:[0,0,1] neg_hi:[0,0,1]
	v_mov_b32_e32 v142, v140
	v_mov_b32_e32 v143, v139
	v_pk_add_f32 v[132:133], v[142:143], v[132:133]
	v_pk_mul_f32 v[142:143], v[74:75], s[36:37] op_sel_hi:[1,0]
	v_pk_mul_f32 v[60:61], v[60:61], s[30:31] op_sel_hi:[1,0]
	v_pk_fma_f32 v[144:145], v[50:51], s[28:29], v[142:143] op_sel:[0,0,1] op_sel_hi:[1,0,0]
	v_pk_fma_f32 v[142:143], v[50:51], s[28:29], v[142:143] op_sel:[0,0,1] op_sel_hi:[1,0,0] neg_lo:[0,0,1] neg_hi:[0,0,1]
	v_mov_b32_e32 v146, v144
	v_mov_b32_e32 v147, v143
	v_pk_add_f32 v[132:133], v[146:147], v[132:133]
	v_pk_mul_f32 v[146:147], v[48:49], s[38:39] op_sel_hi:[1,0]
	v_pk_mul_f32 v[64:65], v[64:65], s[38:39] op_sel_hi:[1,0]
	;; [unrolled: 7-line block ×3, first 2 shown]
	v_pk_fma_f32 v[152:153], v[34:35], s[18:19], v[150:151] op_sel:[0,0,1] op_sel_hi:[1,0,0]
	v_pk_fma_f32 v[150:151], v[34:35], s[18:19], v[150:151] op_sel:[0,0,1] op_sel_hi:[1,0,0] neg_lo:[0,0,1] neg_hi:[0,0,1]
	v_mov_b32_e32 v154, v152
	v_mov_b32_e32 v155, v151
	v_pk_add_f32 v[132:133], v[154:155], v[132:133]
	ds_write2_b64 v2, v[106:107], v[132:133] offset0:60 offset1:203
	v_pk_fma_f32 v[106:107], v[58:59], s[28:29], v[60:61] op_sel:[0,0,1] op_sel_hi:[1,0,0]
	v_pk_fma_f32 v[58:59], v[58:59], s[28:29], v[60:61] op_sel:[0,0,1] op_sel_hi:[1,0,0] neg_lo:[0,0,1] neg_hi:[0,0,1]
	v_mov_b32_e32 v60, v106
	v_mov_b32_e32 v61, v59
	v_pk_fma_f32 v[132:133], v[62:63], s[16:17], v[64:65] op_sel:[0,0,1] op_sel_hi:[1,0,0]
	v_pk_fma_f32 v[62:63], v[62:63], s[16:17], v[64:65] op_sel:[0,0,1] op_sel_hi:[1,0,0] neg_lo:[0,0,1] neg_hi:[0,0,1]
	v_pk_add_f32 v[60:61], v[0:1], v[60:61]
	v_mov_b32_e32 v64, v132
	v_mov_b32_e32 v65, v63
	v_pk_add_f32 v[60:61], v[64:65], v[60:61]
	v_pk_mul_f32 v[64:65], v[68:69], s[24:25] op_sel_hi:[1,0]
	v_pk_mul_f32 v[40:41], v[40:41], s[34:35] op_sel_hi:[1,0]
	v_pk_fma_f32 v[68:69], v[66:67], s[22:23], v[64:65] op_sel:[0,0,1] op_sel_hi:[1,0,0]
	v_pk_fma_f32 v[64:65], v[66:67], s[22:23], v[64:65] op_sel:[0,0,1] op_sel_hi:[1,0,0] neg_lo:[0,0,1] neg_hi:[0,0,1]
	v_mov_b32_e32 v66, v68
	v_mov_b32_e32 v67, v65
	v_pk_add_f32 v[60:61], v[66:67], v[60:61]
	v_pk_mul_f32 v[66:67], v[74:75], s[40:41] op_sel_hi:[1,0]
	v_mov_b32_e32 v59, v107
	v_pk_fma_f32 v[74:75], v[50:51], s[14:15], v[66:67] op_sel:[0,0,1] op_sel_hi:[1,0,0]
	v_pk_fma_f32 v[50:51], v[50:51], s[14:15], v[66:67] op_sel:[0,0,1] op_sel_hi:[1,0,0] neg_lo:[0,0,1] neg_hi:[0,0,1]
	v_mov_b32_e32 v66, v74
	v_mov_b32_e32 v67, v51
	v_pk_add_f32 v[60:61], v[66:67], v[60:61]
	v_pk_fma_f32 v[66:67], v[42:43], s[18:19], v[48:49] op_sel:[0,0,1] op_sel_hi:[1,0,0]
	v_pk_fma_f32 v[42:43], v[42:43], s[18:19], v[48:49] op_sel:[0,0,1] op_sel_hi:[1,0,0] neg_lo:[0,0,1] neg_hi:[0,0,1]
	v_mov_b32_e32 v48, v66
	v_mov_b32_e32 v49, v43
	v_pk_add_f32 v[48:49], v[48:49], v[60:61]
	;; [unrolled: 5-line block ×3, first 2 shown]
	v_pk_add_f32 v[48:49], v[0:1], v[58:59]
	v_mov_b32_e32 v63, v133
	v_pk_add_f32 v[48:49], v[62:63], v[48:49]
	v_mov_b32_e32 v65, v69
	;; [unrolled: 2-line block ×5, first 2 shown]
	v_pk_add_f32 v[34:35], v[34:35], v[42:43]
	v_add_u32_e32 v2, 0x1800, v70
	v_mov_b32_e32 v129, v131
	v_mov_b32_e32 v53, v85
	ds_write2_b64 v2, v[40:41], v[34:35] offset0:90 offset1:233
	v_pk_add_f32 v[34:35], v[0:1], v[128:129]
	v_mov_b32_e32 v135, v137
	v_pk_add_f32 v[40:41], v[0:1], v[52:53]
	v_mov_b32_e32 v109, v111
	v_pk_add_f32 v[34:35], v[134:135], v[34:35]
	v_mov_b32_e32 v139, v141
	v_pk_add_f32 v[40:41], v[108:109], v[40:41]
	v_mov_b32_e32 v113, v115
	v_pk_add_f32 v[34:35], v[138:139], v[34:35]
	v_mov_b32_e32 v143, v145
	v_pk_add_f32 v[40:41], v[112:113], v[40:41]
	v_mov_b32_e32 v117, v119
	v_pk_add_f32 v[34:35], v[142:143], v[34:35]
	v_mov_b32_e32 v147, v149
	v_pk_add_f32 v[40:41], v[116:117], v[40:41]
	v_mov_b32_e32 v121, v123
	v_pk_add_f32 v[34:35], v[146:147], v[34:35]
	v_mov_b32_e32 v151, v153
	v_pk_add_f32 v[40:41], v[120:121], v[40:41]
	v_mov_b32_e32 v125, v127
	v_pk_add_f32 v[34:35], v[150:151], v[34:35]
	v_pk_add_f32 v[40:41], v[124:125], v[40:41]
	v_add_u32_e32 v2, 0x2200, v70
	v_mov_b32_e32 v81, v83
	v_mov_b32_e32 v29, v27
	;; [unrolled: 1-line block ×3, first 2 shown]
	ds_write2_b64 v2, v[34:35], v[40:41] offset0:56 offset1:199
	v_pk_add_f32 v[34:35], v[0:1], v[80:81]
	v_mov_b32_e32 v87, v89
	v_pk_add_f32 v[26:27], v[0:1], v[28:29]
	v_mov_b32_e32 v33, v31
	;; [unrolled: 2-line block ×15, first 2 shown]
	v_pk_add_f32 v[34:35], v[102:103], v[34:35]
	v_pk_add_f32 v[26:27], v[76:77], v[26:27]
	v_add_u32_e32 v2, 0x2c00, v70
	v_pk_add_f32 v[0:1], v[24:25], v[0:1]
	ds_write2_b64 v2, v[34:35], v[26:27] offset0:22 offset1:165
	ds_write_b64 v70, v[0:1] offset:13728
.LBB0_21:
	s_or_b64 exec, exec, s[0:1]
	s_waitcnt lgkmcnt(0)
	s_barrier
	s_and_b64 exec, exec, s[2:3]
	s_cbranch_execz .LBB0_23
; %bb.22:
	global_load_dwordx2 v[8:9], v70, s[8:9]
	global_load_dwordx2 v[10:11], v70, s[8:9] offset:1144
	global_load_dwordx2 v[12:13], v70, s[8:9] offset:2288
	;; [unrolled: 1-line block ×3, first 2 shown]
	v_mov_b32_e32 v71, 0
	s_movk_i32 s2, 0x1000
	v_lshl_add_u64 v[22:23], s[8:9], 0, v[70:71]
	v_add_co_u32_e32 v24, vcc, s2, v22
	v_mad_u64_u32 v[20:21], s[0:1], s6, v72, 0
	s_nop 0
	v_addc_co_u32_e32 v25, vcc, 0, v23, vcc
	global_load_dwordx2 v[26:27], v[24:25], off offset:480
	v_mad_u64_u32 v[28:29], s[2:3], s4, v73, 0
	v_mov_b32_e32 v30, v21
	v_mov_b32_e32 v32, v29
	v_add_u32_e32 v0, 0x400, v70
	v_add_u32_e32 v4, 0xc00, v70
	v_mad_u64_u32 v[30:31], s[6:7], s7, v72, v[30:31]
	v_mad_u64_u32 v[32:33], s[6:7], s5, v73, v[32:33]
	ds_read_b64 v[16:17], v70
	ds_read2_b64 v[0:3], v0 offset0:15 offset1:158
	ds_read2_b64 v[4:7], v4 offset0:45 offset1:188
	v_mov_b32_e32 v21, v30
	v_mov_b32_e32 v29, v32
	global_load_dwordx2 v[30:31], v[24:25], off offset:1624
	global_load_dwordx2 v[32:33], v[24:25], off offset:2768
	global_load_dwordx2 v[34:35], v[24:25], off offset:3912
	v_mov_b32_e32 v18, s12
	v_mov_b32_e32 v19, s13
	v_lshl_add_u64 v[18:19], v[20:21], 3, v[18:19]
	v_lshl_add_u64 v[18:19], v[28:29], 3, v[18:19]
	s_mov_b32 s0, 0x2ab08acf
	v_mov_b32_e32 v36, 0x478
	s_mov_b32 s1, 0x3f41a06e
	s_mul_i32 s2, s5, 0x478
	v_mad_u64_u32 v[20:21], s[6:7], s4, v36, v[18:19]
	v_add_u32_e32 v21, s2, v21
	s_movk_i32 s3, 0x2000
	v_mad_u64_u32 v[24:25], s[6:7], s4, v36, v[20:21]
	v_add_u32_e32 v25, s2, v25
	s_waitcnt vmcnt(7) lgkmcnt(2)
	v_mul_f32_e32 v28, v17, v9
	v_mul_f32_e32 v9, v16, v9
	s_waitcnt vmcnt(6) lgkmcnt(1)
	v_mul_f32_e32 v29, v1, v11
	s_waitcnt vmcnt(5)
	v_mul_f32_e32 v37, v3, v13
	v_mul_f32_e32 v11, v0, v11
	;; [unrolled: 1-line block ×3, first 2 shown]
	v_fmac_f32_e32 v28, v16, v8
	v_fma_f32 v8, v8, v17, -v9
	v_fmac_f32_e32 v29, v0, v10
	v_fmac_f32_e32 v37, v2, v12
	v_fma_f32 v10, v10, v1, -v11
	v_fma_f32 v16, v12, v3, -v13
	v_cvt_f64_f32_e32 v[0:1], v28
	v_cvt_f64_f32_e32 v[2:3], v8
	;; [unrolled: 1-line block ×6, first 2 shown]
	v_mul_f64 v[0:1], v[0:1], s[0:1]
	v_mul_f64 v[2:3], v[2:3], s[0:1]
	;; [unrolled: 1-line block ×6, first 2 shown]
	v_cvt_f32_f64_e32 v0, v[0:1]
	v_cvt_f32_f64_e32 v1, v[2:3]
	;; [unrolled: 1-line block ×6, first 2 shown]
	global_store_dwordx2 v[18:19], v[0:1], off
	global_store_dwordx2 v[20:21], v[2:3], off
	;; [unrolled: 1-line block ×3, first 2 shown]
	v_add_co_u32_e32 v8, vcc, s3, v22
	s_waitcnt vmcnt(7) lgkmcnt(0)
	v_mul_f32_e32 v38, v5, v15
	v_addc_co_u32_e32 v9, vcc, 0, v23, vcc
	global_load_dwordx2 v[10:11], v[8:9], off offset:960
	global_load_dwordx2 v[12:13], v[8:9], off offset:2104
	v_fmac_f32_e32 v38, v4, v14
	v_cvt_f64_f32_e32 v[28:29], v38
	v_mul_f64 v[0:1], v[28:29], s[0:1]
	v_cvt_f32_f64_e32 v0, v[0:1]
	v_mul_f32_e32 v1, v4, v15
	v_fma_f32 v1, v14, v5, -v1
	v_cvt_f64_f32_e32 v[2:3], v1
	v_mul_f64 v[2:3], v[2:3], s[0:1]
	v_mad_u64_u32 v[4:5], s[6:7], s4, v36, v[24:25]
	v_cvt_f32_f64_e32 v1, v[2:3]
	v_add_u32_e32 v5, s2, v5
	global_store_dwordx2 v[4:5], v[0:1], off
	s_waitcnt vmcnt(9)
	v_mul_f32_e32 v0, v7, v27
	v_fmac_f32_e32 v0, v6, v26
	v_cvt_f64_f32_e32 v[0:1], v0
	v_mul_f64 v[0:1], v[0:1], s[0:1]
	v_cvt_f32_f64_e32 v14, v[0:1]
	v_mul_f32_e32 v0, v6, v27
	v_fma_f32 v0, v26, v7, -v0
	global_load_dwordx2 v[6:7], v[8:9], off offset:3248
	v_cvt_f64_f32_e32 v[0:1], v0
	v_mul_f64 v[0:1], v[0:1], s[0:1]
	v_cvt_f32_f64_e32 v15, v[0:1]
	v_add_u32_e32 v0, 0x1400, v70
	ds_read2_b64 v[0:3], v0 offset0:75 offset1:218
	v_mad_u64_u32 v[4:5], s[6:7], s4, v36, v[4:5]
	v_add_u32_e32 v5, s2, v5
	global_store_dwordx2 v[4:5], v[14:15], off
	s_waitcnt vmcnt(10) lgkmcnt(0)
	v_mul_f32_e32 v14, v1, v31
	v_fmac_f32_e32 v14, v0, v30
	s_movk_i32 s3, 0x3000
	v_cvt_f64_f32_e32 v[8:9], v14
	v_add_co_u32_e32 v14, vcc, s3, v22
	v_mul_f32_e32 v0, v0, v31
	s_nop 0
	v_addc_co_u32_e32 v15, vcc, 0, v23, vcc
	global_load_dwordx2 v[16:17], v[14:15], off offset:296
	v_fma_f32 v0, v30, v1, -v0
	v_cvt_f64_f32_e32 v[0:1], v0
	v_mul_f64 v[8:9], v[8:9], s[0:1]
	v_mul_f64 v[0:1], v[0:1], s[0:1]
	v_cvt_f32_f64_e32 v8, v[8:9]
	v_cvt_f32_f64_e32 v9, v[0:1]
	s_waitcnt vmcnt(10)
	v_mul_f32_e32 v0, v3, v33
	v_fmac_f32_e32 v0, v2, v32
	v_mad_u64_u32 v[4:5], s[6:7], s4, v36, v[4:5]
	v_cvt_f64_f32_e32 v[0:1], v0
	v_add_u32_e32 v5, s2, v5
	v_mul_f64 v[0:1], v[0:1], s[0:1]
	global_store_dwordx2 v[4:5], v[8:9], off
	v_cvt_f32_f64_e32 v8, v[0:1]
	v_mul_f32_e32 v0, v2, v33
	v_fma_f32 v0, v32, v3, -v0
	v_cvt_f64_f32_e32 v[0:1], v0
	v_mul_f64 v[0:1], v[0:1], s[0:1]
	v_cvt_f32_f64_e32 v9, v[0:1]
	v_add_u32_e32 v0, 0x1c00, v70
	ds_read2_b64 v[0:3], v0 offset0:105 offset1:248
	v_mad_u64_u32 v[4:5], s[6:7], s4, v36, v[4:5]
	v_add_u32_e32 v5, s2, v5
	global_store_dwordx2 v[4:5], v[8:9], off
	s_waitcnt vmcnt(11) lgkmcnt(0)
	v_mul_f32_e32 v8, v1, v35
	v_fmac_f32_e32 v8, v0, v34
	v_mul_f32_e32 v0, v0, v35
	v_fma_f32 v0, v34, v1, -v0
	v_cvt_f64_f32_e32 v[8:9], v8
	v_cvt_f64_f32_e32 v[0:1], v0
	v_mul_f64 v[8:9], v[8:9], s[0:1]
	v_mul_f64 v[0:1], v[0:1], s[0:1]
	v_cvt_f32_f64_e32 v8, v[8:9]
	v_cvt_f32_f64_e32 v9, v[0:1]
	v_mad_u64_u32 v[4:5], s[6:7], s4, v36, v[4:5]
	s_waitcnt vmcnt(7)
	v_mul_f32_e32 v0, v3, v11
	v_fmac_f32_e32 v0, v2, v10
	v_cvt_f64_f32_e32 v[0:1], v0
	v_add_u32_e32 v5, s2, v5
	v_mul_f64 v[0:1], v[0:1], s[0:1]
	global_store_dwordx2 v[4:5], v[8:9], off
	v_cvt_f32_f64_e32 v8, v[0:1]
	v_mul_f32_e32 v0, v2, v11
	v_fma_f32 v0, v10, v3, -v0
	v_cvt_f64_f32_e32 v[0:1], v0
	v_mul_f64 v[0:1], v[0:1], s[0:1]
	v_cvt_f32_f64_e32 v9, v[0:1]
	v_add_u32_e32 v0, 0x2800, v70
	ds_read2_b64 v[0:3], v0 offset0:7 offset1:150
	v_mad_u64_u32 v[4:5], s[6:7], s4, v36, v[4:5]
	v_add_u32_e32 v5, s2, v5
	global_store_dwordx2 v[4:5], v[8:9], off
	s_waitcnt vmcnt(8) lgkmcnt(0)
	v_mul_f32_e32 v8, v1, v13
	v_fmac_f32_e32 v8, v0, v12
	v_mul_f32_e32 v0, v0, v13
	v_fma_f32 v0, v12, v1, -v0
	v_cvt_f64_f32_e32 v[8:9], v8
	v_cvt_f64_f32_e32 v[0:1], v0
	v_mul_f64 v[8:9], v[8:9], s[0:1]
	v_mul_f64 v[0:1], v[0:1], s[0:1]
	v_cvt_f32_f64_e32 v8, v[8:9]
	v_cvt_f32_f64_e32 v9, v[0:1]
	s_waitcnt vmcnt(6)
	v_mul_f32_e32 v0, v3, v7
	v_fmac_f32_e32 v0, v2, v6
	v_mad_u64_u32 v[4:5], s[6:7], s4, v36, v[4:5]
	v_cvt_f64_f32_e32 v[0:1], v0
	v_add_u32_e32 v5, s2, v5
	v_mul_f64 v[0:1], v[0:1], s[0:1]
	global_store_dwordx2 v[4:5], v[8:9], off
	v_cvt_f32_f64_e32 v8, v[0:1]
	v_mul_f32_e32 v0, v2, v7
	v_fma_f32 v0, v6, v3, -v0
	v_cvt_f64_f32_e32 v[0:1], v0
	v_mul_f64 v[0:1], v[0:1], s[0:1]
	v_cvt_f32_f64_e32 v9, v[0:1]
	v_add_u32_e32 v0, 0x3000, v70
	ds_read2_b64 v[0:3], v0 offset0:37 offset1:180
	v_mad_u64_u32 v[4:5], s[6:7], s4, v36, v[4:5]
	v_add_u32_e32 v5, s2, v5
	global_store_dwordx2 v[4:5], v[8:9], off
	s_waitcnt vmcnt(6) lgkmcnt(0)
	v_mul_f32_e32 v6, v1, v17
	v_fmac_f32_e32 v6, v0, v16
	v_mul_f32_e32 v0, v0, v17
	v_fma_f32 v0, v16, v1, -v0
	v_cvt_f64_f32_e32 v[6:7], v6
	v_cvt_f64_f32_e32 v[0:1], v0
	v_mul_f64 v[6:7], v[6:7], s[0:1]
	v_mul_f64 v[0:1], v[0:1], s[0:1]
	v_cvt_f32_f64_e32 v6, v[6:7]
	v_cvt_f32_f64_e32 v7, v[0:1]
	v_mad_u64_u32 v[0:1], s[6:7], s4, v36, v[4:5]
	v_add_u32_e32 v1, s2, v1
	global_store_dwordx2 v[0:1], v[6:7], off
	global_load_dwordx2 v[4:5], v[14:15], off offset:1440
	s_waitcnt vmcnt(0)
	v_mul_f32_e32 v6, v3, v5
	v_fmac_f32_e32 v6, v2, v4
	v_mul_f32_e32 v2, v2, v5
	v_fma_f32 v2, v4, v3, -v2
	v_cvt_f64_f32_e32 v[6:7], v6
	v_cvt_f64_f32_e32 v[2:3], v2
	v_mul_f64 v[6:7], v[6:7], s[0:1]
	v_mul_f64 v[2:3], v[2:3], s[0:1]
	v_mad_u64_u32 v[0:1], s[0:1], s4, v36, v[0:1]
	v_cvt_f32_f64_e32 v6, v[6:7]
	v_cvt_f32_f64_e32 v7, v[2:3]
	v_add_u32_e32 v1, s2, v1
	global_store_dwordx2 v[0:1], v[6:7], off
.LBB0_23:
	s_endpgm
	.section	.rodata,"a",@progbits
	.p2align	6, 0x0
	.amdhsa_kernel bluestein_single_back_len1859_dim1_sp_op_CI_CI
		.amdhsa_group_segment_fixed_size 14872
		.amdhsa_private_segment_fixed_size 0
		.amdhsa_kernarg_size 104
		.amdhsa_user_sgpr_count 2
		.amdhsa_user_sgpr_dispatch_ptr 0
		.amdhsa_user_sgpr_queue_ptr 0
		.amdhsa_user_sgpr_kernarg_segment_ptr 1
		.amdhsa_user_sgpr_dispatch_id 0
		.amdhsa_user_sgpr_kernarg_preload_length 0
		.amdhsa_user_sgpr_kernarg_preload_offset 0
		.amdhsa_user_sgpr_private_segment_size 0
		.amdhsa_uses_dynamic_stack 0
		.amdhsa_enable_private_segment 0
		.amdhsa_system_sgpr_workgroup_id_x 1
		.amdhsa_system_sgpr_workgroup_id_y 0
		.amdhsa_system_sgpr_workgroup_id_z 0
		.amdhsa_system_sgpr_workgroup_info 0
		.amdhsa_system_vgpr_workitem_id 0
		.amdhsa_next_free_vgpr 180
		.amdhsa_next_free_sgpr 52
		.amdhsa_accum_offset 180
		.amdhsa_reserve_vcc 1
		.amdhsa_float_round_mode_32 0
		.amdhsa_float_round_mode_16_64 0
		.amdhsa_float_denorm_mode_32 3
		.amdhsa_float_denorm_mode_16_64 3
		.amdhsa_dx10_clamp 1
		.amdhsa_ieee_mode 1
		.amdhsa_fp16_overflow 0
		.amdhsa_tg_split 0
		.amdhsa_exception_fp_ieee_invalid_op 0
		.amdhsa_exception_fp_denorm_src 0
		.amdhsa_exception_fp_ieee_div_zero 0
		.amdhsa_exception_fp_ieee_overflow 0
		.amdhsa_exception_fp_ieee_underflow 0
		.amdhsa_exception_fp_ieee_inexact 0
		.amdhsa_exception_int_div_zero 0
	.end_amdhsa_kernel
	.text
.Lfunc_end0:
	.size	bluestein_single_back_len1859_dim1_sp_op_CI_CI, .Lfunc_end0-bluestein_single_back_len1859_dim1_sp_op_CI_CI
                                        ; -- End function
	.section	.AMDGPU.csdata,"",@progbits
; Kernel info:
; codeLenInByte = 18684
; NumSgprs: 58
; NumVgprs: 180
; NumAgprs: 0
; TotalNumVgprs: 180
; ScratchSize: 0
; MemoryBound: 0
; FloatMode: 240
; IeeeMode: 1
; LDSByteSize: 14872 bytes/workgroup (compile time only)
; SGPRBlocks: 7
; VGPRBlocks: 22
; NumSGPRsForWavesPerEU: 58
; NumVGPRsForWavesPerEU: 180
; AccumOffset: 180
; Occupancy: 2
; WaveLimiterHint : 1
; COMPUTE_PGM_RSRC2:SCRATCH_EN: 0
; COMPUTE_PGM_RSRC2:USER_SGPR: 2
; COMPUTE_PGM_RSRC2:TRAP_HANDLER: 0
; COMPUTE_PGM_RSRC2:TGID_X_EN: 1
; COMPUTE_PGM_RSRC2:TGID_Y_EN: 0
; COMPUTE_PGM_RSRC2:TGID_Z_EN: 0
; COMPUTE_PGM_RSRC2:TIDIG_COMP_CNT: 0
; COMPUTE_PGM_RSRC3_GFX90A:ACCUM_OFFSET: 44
; COMPUTE_PGM_RSRC3_GFX90A:TG_SPLIT: 0
	.text
	.p2alignl 6, 3212836864
	.fill 256, 4, 3212836864
	.type	__hip_cuid_1a285a32d7397c66,@object ; @__hip_cuid_1a285a32d7397c66
	.section	.bss,"aw",@nobits
	.globl	__hip_cuid_1a285a32d7397c66
__hip_cuid_1a285a32d7397c66:
	.byte	0                               ; 0x0
	.size	__hip_cuid_1a285a32d7397c66, 1

	.ident	"AMD clang version 19.0.0git (https://github.com/RadeonOpenCompute/llvm-project roc-6.4.0 25133 c7fe45cf4b819c5991fe208aaa96edf142730f1d)"
	.section	".note.GNU-stack","",@progbits
	.addrsig
	.addrsig_sym __hip_cuid_1a285a32d7397c66
	.amdgpu_metadata
---
amdhsa.kernels:
  - .agpr_count:     0
    .args:
      - .actual_access:  read_only
        .address_space:  global
        .offset:         0
        .size:           8
        .value_kind:     global_buffer
      - .actual_access:  read_only
        .address_space:  global
        .offset:         8
        .size:           8
        .value_kind:     global_buffer
      - .actual_access:  read_only
        .address_space:  global
        .offset:         16
        .size:           8
        .value_kind:     global_buffer
      - .actual_access:  read_only
        .address_space:  global
        .offset:         24
        .size:           8
        .value_kind:     global_buffer
      - .actual_access:  read_only
        .address_space:  global
        .offset:         32
        .size:           8
        .value_kind:     global_buffer
      - .offset:         40
        .size:           8
        .value_kind:     by_value
      - .address_space:  global
        .offset:         48
        .size:           8
        .value_kind:     global_buffer
      - .address_space:  global
        .offset:         56
        .size:           8
        .value_kind:     global_buffer
      - .address_space:  global
        .offset:         64
        .size:           8
        .value_kind:     global_buffer
      - .address_space:  global
        .offset:         72
        .size:           8
        .value_kind:     global_buffer
      - .offset:         80
        .size:           4
        .value_kind:     by_value
      - .address_space:  global
        .offset:         88
        .size:           8
        .value_kind:     global_buffer
      - .address_space:  global
        .offset:         96
        .size:           8
        .value_kind:     global_buffer
    .group_segment_fixed_size: 14872
    .kernarg_segment_align: 8
    .kernarg_segment_size: 104
    .language:       OpenCL C
    .language_version:
      - 2
      - 0
    .max_flat_workgroup_size: 169
    .name:           bluestein_single_back_len1859_dim1_sp_op_CI_CI
    .private_segment_fixed_size: 0
    .sgpr_count:     58
    .sgpr_spill_count: 0
    .symbol:         bluestein_single_back_len1859_dim1_sp_op_CI_CI.kd
    .uniform_work_group_size: 1
    .uses_dynamic_stack: false
    .vgpr_count:     180
    .vgpr_spill_count: 0
    .wavefront_size: 64
amdhsa.target:   amdgcn-amd-amdhsa--gfx950
amdhsa.version:
  - 1
  - 2
...

	.end_amdgpu_metadata
